;; amdgpu-corpus repo=ROCm/rocFFT kind=compiled arch=gfx906 opt=O3
	.text
	.amdgcn_target "amdgcn-amd-amdhsa--gfx906"
	.amdhsa_code_object_version 6
	.protected	bluestein_single_back_len11_dim1_half_op_CI_CI ; -- Begin function bluestein_single_back_len11_dim1_half_op_CI_CI
	.globl	bluestein_single_back_len11_dim1_half_op_CI_CI
	.p2align	8
	.type	bluestein_single_back_len11_dim1_half_op_CI_CI,@function
bluestein_single_back_len11_dim1_half_op_CI_CI: ; @bluestein_single_back_len11_dim1_half_op_CI_CI
; %bb.0:
	s_load_dwordx4 s[12:15], s[4:5], 0x28
	v_lshl_or_b32 v12, s6, 7, v0
	v_mov_b32_e32 v13, 0
	s_waitcnt lgkmcnt(0)
	v_cmp_gt_u64_e32 vcc, s[12:13], v[12:13]
	s_and_saveexec_b64 s[0:1], vcc
	s_cbranch_execz .LBB0_2
; %bb.1:
	s_load_dwordx4 s[8:11], s[4:5], 0x18
	s_load_dwordx2 s[6:7], s[4:5], 0x0
	v_mov_b32_e32 v4, s15
	v_mul_u32_u24_e32 v18, 44, v0
	v_mov_b32_e32 v30, 0xffff
	s_waitcnt lgkmcnt(0)
	s_load_dwordx4 s[0:3], s[8:9], 0x0
	global_load_dwordx4 v[8:11], v13, s[6:7]
	s_movk_i32 s18, 0x3beb
	s_mov_b32 s17, 0xb482
	s_movk_i32 s16, 0x3853
	s_waitcnt lgkmcnt(0)
	v_mad_u64_u32 v[1:2], s[8:9], s2, v12, 0
	s_movk_i32 s19, 0x3a0c
	s_movk_i32 s20, 0x3482
	v_mad_u64_u32 v[2:3], s[2:3], s3, v12, v[2:3]
	s_lshl_b64 s[2:3], s[0:1], 2
	v_mov_b32_e32 v3, s3
	v_lshlrev_b64 v[1:2], 2, v[1:2]
	v_add_co_u32_e32 v14, vcc, s14, v1
	v_addc_co_u32_e32 v15, vcc, v4, v2, vcc
	v_add_co_u32_e32 v1, vcc, s2, v14
	v_addc_co_u32_e32 v2, vcc, v15, v3, vcc
	global_load_dword v24, v[14:15], off
	global_load_dword v25, v[1:2], off
	v_mad_u64_u32 v[1:2], s[2:3], s0, 12, v[14:15]
	s_lshl_b64 s[2:3], s[0:1], 3
	v_mov_b32_e32 v4, s3
	v_mad_u64_u32 v[2:3], s[8:9], s1, 12, v[2:3]
	v_add_co_u32_e32 v3, vcc, s2, v14
	v_addc_co_u32_e32 v4, vcc, v15, v4, vcc
	global_load_dword v26, v[1:2], off
	global_load_dword v27, v[3:4], off
	v_mad_u64_u32 v[0:1], s[8:9], s0, 20, v[14:15]
	s_lshl_b64 s[8:9], s[0:1], 4
	v_mov_b32_e32 v3, s9
	v_mad_u64_u32 v[1:2], s[12:13], s1, 20, v[1:2]
	v_add_co_u32_e32 v2, vcc, s8, v14
	v_mad_u64_u32 v[16:17], s[8:9], s0, 24, v[14:15]
	v_mad_u64_u32 v[19:20], s[8:9], s0, 28, v[14:15]
	global_load_dwordx4 v[4:7], v13, s[6:7] offset:16
	v_addc_co_u32_e32 v3, vcc, v15, v3, vcc
	global_load_dword v28, v[0:1], off
	global_load_dword v29, v[2:3], off
	v_mov_b32_e32 v0, v17
	v_mov_b32_e32 v1, v20
	v_mad_u64_u32 v[20:21], s[12:13], s1, 24, v[0:1]
	v_mad_u64_u32 v[21:22], s[12:13], s1, 28, v[1:2]
	v_mov_b32_e32 v17, v20
	s_load_dwordx4 s[8:11], s[10:11], 0x0
	v_mov_b32_e32 v20, v21
	global_load_dwordx4 v[0:3], v13, s[6:7] offset:32
	global_load_dword v31, v[19:20], off
	global_load_dword v32, v[16:17], off
	v_mad_u64_u32 v[16:17], s[14:15], s0, 36, v[14:15]
	s_lshl_b64 s[12:13], s[0:1], 5
	v_mov_b32_e32 v21, s13
	v_mad_u64_u32 v[19:20], s[14:15], s0, 40, v[14:15]
	v_add_co_u32_e32 v14, vcc, s12, v14
	v_addc_co_u32_e32 v15, vcc, v15, v21, vcc
	v_mad_u64_u32 v[21:22], s[12:13], s1, 36, v[17:18]
	global_load_dword v14, v[14:15], off
	s_mov_b32 s2, 0xffff
	v_mov_b32_e32 v17, v21
	v_mad_u64_u32 v[22:23], s[0:1], s1, 40, v[20:21]
	global_load_dword v15, v[16:17], off
	s_movk_i32 s1, 0x3abb
	v_mov_b32_e32 v20, v22
	global_load_dword v16, v[19:20], off
	s_waitcnt vmcnt(13)
	v_lshrrev_b32_e32 v23, 16, v9
	v_and_b32_e32 v17, 0xffff, v8
	v_and_b32_sdwa v19, v30, v8 dst_sel:DWORD dst_unused:UNUSED_PAD src0_sel:DWORD src1_sel:WORD_1
	v_lshl_or_b32 v17, v9, 16, v17
	v_lshl_or_b32 v19, v23, 16, v19
	v_lshrrev_b32_e32 v22, 16, v11
	s_movk_i32 s0, 0x36a6
	s_mov_b32 s3, 0xb93d
	s_mov_b32 s12, 0xbbad
	;; [unrolled: 1-line block ×5, first 2 shown]
	s_waitcnt vmcnt(12)
	v_mul_f16_sdwa v20, v8, v24 dst_sel:DWORD dst_unused:UNUSED_PAD src0_sel:WORD_1 src1_sel:WORD_1
	s_waitcnt vmcnt(11)
	v_bfi_b32 v33, s2, v24, v25
	v_alignbit_b32 v34, v25, v24, 16
	v_lshrrev_b32_e32 v21, 16, v25
	v_fma_f16 v20, v8, v24, v20
	v_mul_f16_e32 v24, v23, v25
	v_pk_mul_f16 v25, v17, v34
	v_pk_mul_f16 v19, v19, v33
	v_fma_f16 v21, v9, v21, -v24
	v_pk_fma_f16 v17, v17, v34, v19
	v_sub_f16_e32 v19, v25, v19
	v_alignbit_b32 v17, v21, v17, 16
	v_pack_b32_f16 v19, v20, v19
	s_waitcnt vmcnt(9)
	v_mul_f16_sdwa v21, v10, v27 dst_sel:DWORD dst_unused:UNUSED_PAD src0_sel:WORD_1 src1_sel:WORD_1
	ds_write2_b32 v18, v19, v17 offset1:1
	v_bfi_b32 v19, s2, v27, v26
	v_alignbit_b32 v20, v26, v27, 16
	v_fma_f16 v21, v10, v27, v21
	v_and_b32_sdwa v27, v30, v10 dst_sel:DWORD dst_unused:UNUSED_PAD src0_sel:DWORD src1_sel:WORD_1
	v_and_b32_e32 v24, 0xffff, v10
	v_lshl_or_b32 v27, v22, 16, v27
	v_lshl_or_b32 v24, v11, 16, v24
	v_pk_mul_f16 v19, v27, v19
	v_lshrrev_b32_e32 v17, 16, v26
	v_pk_mul_f16 v25, v24, v20
	v_pk_fma_f16 v20, v24, v20, v19
	v_mul_f16_e32 v24, v22, v26
	v_fma_f16 v17, v11, v17, -v24
	v_sub_f16_e32 v19, v25, v19
	v_alignbit_b32 v17, v17, v20, 16
	v_pack_b32_f16 v19, v21, v19
	s_waitcnt vmcnt(6)
	v_mul_f16_sdwa v25, v4, v29 dst_sel:DWORD dst_unused:UNUSED_PAD src0_sel:WORD_1 src1_sel:WORD_1
	ds_write2_b32 v18, v19, v17 offset0:2 offset1:3
	v_lshrrev_b32_e32 v21, 16, v5
	v_bfi_b32 v19, s2, v29, v28
	v_alignbit_b32 v24, v28, v29, 16
	v_fma_f16 v25, v4, v29, v25
	v_and_b32_sdwa v29, v30, v4 dst_sel:DWORD dst_unused:UNUSED_PAD src0_sel:DWORD src1_sel:WORD_1
	v_and_b32_e32 v26, 0xffff, v4
	v_lshl_or_b32 v29, v21, 16, v29
	v_lshl_or_b32 v26, v5, 16, v26
	v_pk_mul_f16 v19, v29, v19
	v_lshrrev_b32_e32 v17, 16, v28
	v_pk_mul_f16 v27, v26, v24
	v_pk_fma_f16 v24, v26, v24, v19
	v_mul_f16_e32 v26, v21, v28
	v_fma_f16 v17, v5, v17, -v26
	v_sub_f16_e32 v19, v27, v19
	v_lshrrev_b32_e32 v20, 16, v7
	v_alignbit_b32 v17, v17, v24, 16
	v_pack_b32_f16 v19, v25, v19
	v_and_b32_sdwa v28, v30, v6 dst_sel:DWORD dst_unused:UNUSED_PAD src0_sel:DWORD src1_sel:WORD_1
	ds_write2_b32 v18, v19, v17 offset0:4 offset1:5
	s_waitcnt vmcnt(3)
	v_bfi_b32 v19, s2, v32, v31
	v_and_b32_e32 v26, 0xffff, v6
	v_lshl_or_b32 v28, v20, 16, v28
	v_alignbit_b32 v24, v31, v32, 16
	v_lshl_or_b32 v26, v7, 16, v26
	v_pk_mul_f16 v19, v28, v19
	v_lshrrev_b32_e32 v17, 16, v31
	v_mul_f16_sdwa v25, v6, v32 dst_sel:DWORD dst_unused:UNUSED_PAD src0_sel:WORD_1 src1_sel:WORD_1
	v_pk_mul_f16 v27, v26, v24
	v_pk_fma_f16 v24, v26, v24, v19
	v_mul_f16_e32 v26, v20, v31
	v_fma_f16 v25, v6, v32, v25
	v_fma_f16 v17, v7, v17, -v26
	v_sub_f16_e32 v19, v27, v19
	v_alignbit_b32 v17, v17, v24, 16
	v_pack_b32_f16 v19, v25, v19
	s_waitcnt vmcnt(2)
	v_mul_f16_sdwa v26, v0, v14 dst_sel:DWORD dst_unused:UNUSED_PAD src0_sel:WORD_1 src1_sel:WORD_1
	ds_write2_b32 v18, v19, v17 offset0:6 offset1:7
	v_lshrrev_b32_e32 v19, 16, v1
	s_waitcnt vmcnt(1)
	v_bfi_b32 v24, s2, v14, v15
	v_alignbit_b32 v25, v15, v14, 16
	v_fma_f16 v14, v0, v14, v26
	v_and_b32_e32 v26, 0xffff, v0
	v_and_b32_sdwa v28, v30, v0 dst_sel:DWORD dst_unused:UNUSED_PAD src0_sel:DWORD src1_sel:WORD_1
	v_lshl_or_b32 v26, v1, 16, v26
	v_lshl_or_b32 v28, v19, 16, v28
	v_lshrrev_b32_e32 v17, 16, v15
	v_pk_mul_f16 v27, v26, v25
	v_pk_mul_f16 v24, v28, v24
	v_mul_f16_e32 v15, v19, v15
	v_pk_fma_f16 v25, v26, v25, v24
	v_fma_f16 v15, v1, v17, -v15
	v_sub_f16_e32 v17, v27, v24
	v_alignbit_b32 v15, v15, v25, 16
	v_pack_b32_f16 v14, v14, v17
	ds_write2_b32 v18, v14, v15 offset0:8 offset1:9
	s_waitcnt vmcnt(0)
	v_lshrrev_b32_e32 v14, 16, v16
	v_mul_f16_sdwa v15, v2, v14 dst_sel:DWORD dst_unused:UNUSED_PAD src0_sel:WORD_1 src1_sel:DWORD
	v_fma_f16 v15, v2, v16, v15
	v_mul_f16_sdwa v16, v2, v16 dst_sel:DWORD dst_unused:UNUSED_PAD src0_sel:WORD_1 src1_sel:DWORD
	v_fma_f16 v14, v2, v14, -v16
	v_pack_b32_f16 v14, v15, v14
	ds_write_b32 v18, v14 offset:40
	s_waitcnt lgkmcnt(0)
	s_barrier
	ds_read2_b32 v[14:15], v18 offset0:7 offset1:8
	ds_read2_b32 v[16:17], v18 offset0:3 offset1:4
	ds_read_b32 v30, v18
	ds_read2_b32 v[24:25], v18 offset0:5 offset1:6
	ds_read2_b32 v[26:27], v18 offset0:1 offset1:2
	;; [unrolled: 1-line block ×3, first 2 shown]
	s_waitcnt lgkmcnt(4)
	v_add_f16_e32 v36, v14, v17
	v_add_f16_sdwa v37, v14, v17 dst_sel:DWORD dst_unused:UNUSED_PAD src0_sel:WORD_1 src1_sel:WORD_1
	v_sub_f16_e32 v38, v17, v14
	s_waitcnt lgkmcnt(1)
	v_add_f16_e32 v34, v26, v30
	v_add_f16_sdwa v35, v26, v30 dst_sel:DWORD dst_unused:UNUSED_PAD src0_sel:WORD_1 src1_sel:WORD_1
	v_add_f16_e32 v34, v34, v27
	v_add_f16_sdwa v35, v35, v27 dst_sel:DWORD dst_unused:UNUSED_PAD src0_sel:DWORD src1_sel:WORD_1
	v_add_f16_e32 v34, v34, v16
	v_add_f16_sdwa v35, v35, v16 dst_sel:DWORD dst_unused:UNUSED_PAD src0_sel:DWORD src1_sel:WORD_1
	;; [unrolled: 2-line block ×5, first 2 shown]
	v_sub_f16_sdwa v17, v17, v14 dst_sel:DWORD dst_unused:UNUSED_PAD src0_sel:WORD_1 src1_sel:WORD_1
	v_add_f16_e32 v34, v34, v14
	v_add_f16_sdwa v14, v35, v14 dst_sel:DWORD dst_unused:UNUSED_PAD src0_sel:DWORD src1_sel:WORD_1
	v_add_f16_e32 v34, v34, v15
	v_add_f16_sdwa v14, v14, v15 dst_sel:DWORD dst_unused:UNUSED_PAD src0_sel:DWORD src1_sel:WORD_1
	v_add_f16_e32 v31, v15, v16
	v_add_f16_sdwa v32, v15, v16 dst_sel:DWORD dst_unused:UNUSED_PAD src0_sel:WORD_1 src1_sel:WORD_1
	v_sub_f16_e32 v33, v16, v15
	v_sub_f16_sdwa v16, v16, v15 dst_sel:DWORD dst_unused:UNUSED_PAD src0_sel:WORD_1 src1_sel:WORD_1
	s_waitcnt lgkmcnt(0)
	v_add_f16_e32 v15, v29, v26
	v_add_f16_sdwa v35, v29, v26 dst_sel:DWORD dst_unused:UNUSED_PAD src0_sel:WORD_1 src1_sel:WORD_1
	v_sub_f16_e32 v39, v26, v29
	v_sub_f16_sdwa v26, v26, v29 dst_sel:DWORD dst_unused:UNUSED_PAD src0_sel:WORD_1 src1_sel:WORD_1
	v_add_f16_e32 v34, v34, v28
	v_add_f16_sdwa v14, v14, v28 dst_sel:DWORD dst_unused:UNUSED_PAD src0_sel:DWORD src1_sel:WORD_1
	v_add_f16_e32 v40, v28, v27
	v_add_f16_sdwa v41, v28, v27 dst_sel:DWORD dst_unused:UNUSED_PAD src0_sel:WORD_1 src1_sel:WORD_1
	v_sub_f16_e32 v42, v27, v28
	v_sub_f16_sdwa v27, v27, v28 dst_sel:DWORD dst_unused:UNUSED_PAD src0_sel:WORD_1 src1_sel:WORD_1
	v_add_f16_e32 v28, v34, v29
	v_add_f16_sdwa v14, v14, v29 dst_sel:WORD_1 dst_unused:UNUSED_PAD src0_sel:DWORD src1_sel:WORD_1
	v_add_f16_e32 v29, v25, v24
	v_add_f16_sdwa v34, v25, v24 dst_sel:DWORD dst_unused:UNUSED_PAD src0_sel:WORD_1 src1_sel:WORD_1
	v_sub_f16_e32 v43, v24, v25
	v_sub_f16_sdwa v24, v24, v25 dst_sel:DWORD dst_unused:UNUSED_PAD src0_sel:WORD_1 src1_sel:WORD_1
	v_mul_f16_e32 v25, 0xb853, v26
	v_fma_f16 v44, v15, s1, -v25
	v_mul_f16_e32 v45, 0xbb47, v27
	v_add_f16_e32 v44, v44, v30
	v_fma_f16 v46, v40, s0, -v45
	v_add_f16_e32 v44, v46, v44
	v_mul_f16_e32 v46, 0xb853, v39
	v_fma_f16 v47, v35, s1, v46
	v_mul_f16_e32 v48, 0xbb47, v42
	v_add_f16_sdwa v47, v47, v30 dst_sel:DWORD dst_unused:UNUSED_PAD src0_sel:DWORD src1_sel:WORD_1
	v_fma_f16 v49, v41, s0, v48
	v_add_f16_e32 v47, v49, v47
	v_mul_f16_e32 v49, 0xbb47, v26
	v_fma_f16 v50, v15, s0, -v49
	v_mul_f16_e32 v51, 0xba0c, v27
	v_add_f16_e32 v50, v50, v30
	v_fma_f16 v52, v40, s3, -v51
	v_add_f16_e32 v50, v52, v50
	v_mul_f16_e32 v52, 0xbb47, v39
	v_fma_f16 v53, v35, s0, v52
	v_mul_f16_e32 v54, 0xba0c, v42
	v_add_f16_sdwa v53, v53, v30 dst_sel:DWORD dst_unused:UNUSED_PAD src0_sel:DWORD src1_sel:WORD_1
	v_fma_f16 v55, v41, s3, v54
	v_add_f16_e32 v53, v55, v53
	s_mov_b32 s2, 0xb08e
	v_mul_f16_e32 v55, 0xbbeb, v16
	v_fma_f16 v56, v31, s2, -v55
	v_add_f16_e32 v44, v56, v44
	v_mul_f16_e32 v56, 0xbbeb, v33
	v_fma_f16 v57, v32, s2, v56
	v_add_f16_e32 v47, v57, v47
	v_mul_f16_e32 v57, 0x3482, v16
	v_fma_f16 v58, v31, s12, -v57
	v_add_f16_e32 v50, v58, v50
	v_mul_f16_e32 v58, 0x3482, v33
	v_fma_f16 v59, v32, s12, v58
	v_add_f16_e32 v53, v59, v53
	;; [unrolled: 6-line block ×6, first 2 shown]
	v_pack_b32_f16 v50, v50, v53
	v_pack_b32_f16 v44, v44, v47
	ds_write2_b32 v18, v44, v50 offset0:1 offset1:2
	v_mul_f16_e32 v50, 0xbbeb, v39
	v_mul_f16_e32 v53, 0xba0c, v39
	v_or_b32_e32 v14, v14, v28
	v_fma_f16 v28, v35, s1, -v46
	v_fma_f16 v46, v35, s0, -v52
	v_mul_f16_e32 v47, 0xbbeb, v26
	v_fma_f16 v52, v35, s2, v50
	v_fma_f16 v50, v35, s2, -v50
	v_fma_f16 v67, v35, s3, v53
	v_fma_f16 v53, v35, s3, -v53
	v_pack_b32_f16 v35, v35, v26
	v_mul_f16_e32 v26, 0xba0c, v26
	v_fma_f16 v25, v15, s1, v25
	v_fma_f16 v44, v15, s0, v49
	v_fma_f16 v49, v15, s2, -v47
	v_fma_f16 v47, v15, s2, v47
	v_fma_f16 v68, v15, s3, -v26
	v_fma_f16 v26, v15, s3, v26
	v_pack_b32_f16 v15, v39, v15
	v_pk_mul_f16 v15, v15, s14
	v_pk_fma_f16 v39, v35, s13, v15 neg_lo:[1,0,0] neg_hi:[1,0,0]
	v_pk_fma_f16 v69, v35, s13, v15
	v_pk_fma_f16 v15, v35, s13, v15 neg_lo:[0,0,1] neg_hi:[0,0,1]
	v_add_f16_e32 v25, v25, v30
	v_add_f16_sdwa v28, v28, v30 dst_sel:DWORD dst_unused:UNUSED_PAD src0_sel:DWORD src1_sel:WORD_1
	v_add_f16_e32 v35, v44, v30
	v_add_f16_sdwa v44, v46, v30 dst_sel:DWORD dst_unused:UNUSED_PAD src0_sel:DWORD src1_sel:WORD_1
	;; [unrolled: 2-line block ×6, first 2 shown]
	v_pk_add_f16 v39, v39, v30 op_sel:[0,1] op_sel_hi:[1,0]
	v_pk_add_f16 v68, v69, v30 op_sel:[0,1] op_sel_hi:[1,0]
	;; [unrolled: 1-line block ×3, first 2 shown]
	v_fma_f16 v30, v40, s0, v45
	v_add_f16_e32 v25, v30, v25
	v_fma_f16 v30, v41, s0, -v48
	v_add_f16_e32 v28, v30, v28
	v_fma_f16 v30, v40, s3, v51
	v_add_f16_e32 v30, v30, v35
	v_fma_f16 v35, v41, s3, -v54
	v_add_f16_e32 v35, v35, v44
	v_mul_f16_e32 v44, 0x3482, v27
	v_fma_f16 v45, v40, s12, -v44
	v_add_f16_e32 v45, v45, v46
	v_mul_f16_e32 v46, 0x3482, v42
	v_fma_f16 v44, v40, s12, v44
	v_fma_f16 v48, v41, s12, v46
	v_add_f16_e32 v44, v44, v47
	v_mul_f16_e32 v47, 0x3beb, v27
	v_add_f16_e32 v48, v48, v49
	v_fma_f16 v46, v41, s12, -v46
	v_fma_f16 v49, v40, s2, -v47
	v_fma_f16 v47, v40, s2, v47
	v_pack_b32_f16 v40, v42, v40
	s_mov_b32 s14, 0x3abb3853
	v_add_f16_e32 v46, v46, v50
	v_mul_f16_e32 v50, 0x3beb, v42
	v_pack_b32_f16 v27, v41, v27
	s_mov_b32 s13, 0x38533abb
	v_pk_mul_f16 v40, v40, s14
	v_fma_f16 v51, v41, s2, v50
	v_add_f16_e32 v26, v47, v26
	v_fma_f16 v47, v41, s2, -v50
	v_pk_fma_f16 v41, v27, s13, v40 neg_lo:[1,0,0] neg_hi:[1,0,0]
	v_pk_add_f16 v39, v41, v39
	v_pk_fma_f16 v41, v27, s13, v40
	v_pk_fma_f16 v27, v27, s13, v40 neg_lo:[0,0,1] neg_hi:[0,0,1]
	v_pk_add_f16 v15, v27, v15
	v_fma_f16 v27, v31, s2, v55
	v_add_f16_e32 v25, v27, v25
	v_fma_f16 v27, v32, s2, -v56
	v_add_f16_e32 v27, v27, v28
	v_fma_f16 v28, v31, s12, v57
	v_add_f16_e32 v28, v28, v30
	v_fma_f16 v30, v32, s12, -v58
	v_add_f16_e32 v30, v30, v35
	v_mul_f16_e32 v35, 0x3b47, v16
	v_fma_f16 v40, v31, s0, -v35
	v_mul_f16_e32 v42, 0x3b47, v33
	v_fma_f16 v35, v31, s0, v35
	v_add_f16_e32 v40, v40, v45
	v_fma_f16 v45, v32, s0, v42
	v_add_f16_e32 v35, v35, v44
	v_fma_f16 v42, v32, s0, -v42
	v_mul_f16_e32 v44, 0xb853, v16
	v_add_f16_e32 v42, v42, v46
	v_fma_f16 v46, v31, s1, -v44
	v_fma_f16 v44, v31, s1, v44
	v_pack_b32_f16 v31, v33, v31
	s_mov_b32 s14, 0xb93dba0c
	v_add_f16_e32 v49, v49, v52
	v_add_f16_e32 v45, v45, v48
	v_mul_f16_e32 v48, 0xb853, v33
	v_pack_b32_f16 v16, v32, v16
	s_mov_b32 s13, 0xba0cb93d
	v_pk_mul_f16 v31, v31, s14
	v_add_f16_e32 v46, v46, v49
	v_fma_f16 v49, v32, s1, v48
	v_add_f16_e32 v26, v44, v26
	v_fma_f16 v44, v32, s1, -v48
	v_pk_fma_f16 v32, v16, s13, v31 neg_lo:[1,0,0] neg_hi:[1,0,0]
	v_pk_fma_f16 v33, v16, s13, v31
	v_pk_fma_f16 v16, v16, s13, v31 neg_lo:[0,0,1] neg_hi:[0,0,1]
	v_pk_add_f16 v15, v16, v15
	v_fma_f16 v16, v36, s3, v59
	v_add_f16_e32 v16, v16, v25
	v_fma_f16 v25, v37, s3, -v60
	v_add_f16_e32 v25, v25, v27
	v_fma_f16 v27, v36, s2, v61
	v_add_f16_e32 v27, v27, v28
	v_fma_f16 v28, v37, s2, -v62
	v_add_f16_e32 v28, v28, v30
	v_mul_f16_e32 v30, 0xb853, v17
	v_pk_add_f16 v32, v32, v39
	v_fma_f16 v31, v36, s1, -v30
	v_mul_f16_e32 v39, 0xb853, v38
	v_fma_f16 v30, v36, s1, v30
	v_pk_add_f16 v41, v41, v68
	v_add_f16_e32 v31, v31, v40
	v_fma_f16 v40, v37, s1, v39
	v_add_f16_e32 v30, v30, v35
	v_fma_f16 v35, v37, s1, -v39
	v_mul_f16_e32 v39, 0xb482, v17
	v_pk_add_f16 v33, v33, v41
	v_fma_f16 v41, v36, s12, -v39
	v_fma_f16 v39, v36, s12, v39
	v_pack_b32_f16 v36, v38, v36
	s_mov_b32 s14, 0x36a63b47
	v_add_f16_e32 v35, v35, v42
	v_mul_f16_e32 v42, 0xb482, v38
	v_pack_b32_f16 v17, v37, v17
	s_mov_b32 s13, 0x3b4736a6
	v_pk_mul_f16 v36, v36, s14
	v_add_f16_e32 v40, v40, v45
	v_fma_f16 v45, v37, s12, v42
	v_add_f16_e32 v26, v39, v26
	v_fma_f16 v39, v37, s12, -v42
	v_pk_fma_f16 v37, v17, s13, v36 neg_lo:[1,0,0] neg_hi:[1,0,0]
	v_pk_add_f16 v32, v37, v32
	v_pk_fma_f16 v37, v17, s13, v36
	v_pk_fma_f16 v17, v17, s13, v36 neg_lo:[0,0,1] neg_hi:[0,0,1]
	v_pk_add_f16 v15, v17, v15
	v_fma_f16 v17, v29, s12, v63
	v_add_f16_e32 v16, v17, v16
	v_fma_f16 v17, v34, s12, -v64
	v_add_f16_e32 v17, v17, v25
	v_fma_f16 v25, v29, s1, v65
	v_add_f16_e32 v25, v25, v27
	v_fma_f16 v27, v34, s1, -v66
	v_add_f16_e32 v27, v27, v28
	v_mul_f16_e32 v28, 0xba0c, v24
	v_fma_f16 v36, v29, s3, -v28
	v_add_f16_e32 v31, v36, v31
	v_mul_f16_e32 v36, 0xba0c, v43
	v_fma_f16 v28, v29, s3, v28
	v_add_f16_e32 v28, v28, v30
	v_fma_f16 v30, v34, s3, -v36
	v_add_f16_e32 v30, v30, v35
	v_mul_f16_e32 v35, 0x3b47, v24
	v_add_f16_e32 v51, v51, v67
	v_pk_add_f16 v33, v37, v33
	v_fma_f16 v37, v34, s3, v36
	v_fma_f16 v36, v29, s0, -v35
	v_fma_f16 v35, v29, s0, v35
	v_pack_b32_f16 v29, v43, v29
	s_mov_b32 s14, 0xb08ebbeb
	v_add_f16_e32 v49, v49, v51
	v_mul_f16_e32 v38, 0x3b47, v43
	v_pack_b32_f16 v24, v34, v24
	s_mov_b32 s13, 0xbbebb08e
	v_pk_mul_f16 v29, v29, s14
	v_add_f16_e32 v47, v47, v53
	v_add_f16_e32 v41, v41, v46
	;; [unrolled: 1-line block ×4, first 2 shown]
	v_fma_f16 v40, v34, s0, v38
	v_add_f16_e32 v26, v35, v26
	v_fma_f16 v35, v34, s0, -v38
	v_pk_fma_f16 v34, v24, s13, v29 neg_lo:[1,0,0] neg_hi:[1,0,0]
	v_add_f16_e32 v44, v44, v47
	v_add_f16_e32 v36, v36, v41
	v_add_f16_e32 v40, v40, v45
	v_pk_add_f16 v32, v34, v32
	v_pk_fma_f16 v34, v24, s13, v29
	v_pk_fma_f16 v24, v24, s13, v29 neg_lo:[0,0,1] neg_hi:[0,0,1]
	v_add_f16_e32 v39, v39, v44
	v_pk_add_f16 v33, v34, v33
	v_pk_add_f16 v15, v24, v15
	ds_write_b32 v18, v14
	v_pack_b32_f16 v14, v36, v40
	v_pack_b32_f16 v24, v31, v37
	v_add_f16_e32 v35, v35, v39
	ds_write2_b32 v18, v24, v14 offset0:3 offset1:4
	v_alignbit_b32 v14, v15, v33, 16
	v_alignbit_b32 v15, v33, v32, 16
	ds_write2_b32 v18, v15, v14 offset0:5 offset1:6
	v_pack_b32_f16 v14, v28, v30
	v_pack_b32_f16 v15, v26, v35
	ds_write2_b32 v18, v15, v14 offset0:7 offset1:8
	v_pack_b32_f16 v14, v16, v17
	v_pack_b32_f16 v15, v25, v27
	ds_write2_b32 v18, v15, v14 offset0:9 offset1:10
	s_waitcnt lgkmcnt(0)
	s_barrier
	global_load_dwordx4 v[14:17], v13, s[6:7] offset:48
	global_load_dwordx4 v[24:27], v13, s[6:7] offset:64
	global_load_dwordx2 v[28:29], v13, s[6:7] offset:80
	ds_read2_b32 v[30:31], v18 offset1:1
	ds_read2_b32 v[32:33], v18 offset0:2 offset1:3
	ds_read2_b32 v[34:35], v18 offset0:4 offset1:5
	;; [unrolled: 1-line block ×3, first 2 shown]
	s_mov_b32 s7, 0xbb47
	s_waitcnt lgkmcnt(3)
	v_lshrrev_b32_e32 v13, 16, v30
	v_mul_f16_sdwa v39, v13, v3 dst_sel:DWORD dst_unused:UNUSED_PAD src0_sel:DWORD src1_sel:WORD_1
	v_lshrrev_b32_e32 v38, 16, v31
	v_fma_f16 v39, v30, v3, -v39
	v_mul_f16_sdwa v30, v30, v3 dst_sel:DWORD dst_unused:UNUSED_PAD src0_sel:DWORD src1_sel:WORD_1
	v_fma_f16 v3, v13, v3, v30
	v_pack_b32_f16 v3, v39, v3
	s_mov_b32 s6, 0xbbeb
	s_mov_b32 s14, 0xba0c
	s_movk_i32 s13, 0x3b47
	s_waitcnt vmcnt(2)
	v_mul_f16_sdwa v13, v38, v14 dst_sel:DWORD dst_unused:UNUSED_PAD src0_sel:DWORD src1_sel:WORD_1
	v_mul_f16_sdwa v30, v31, v14 dst_sel:DWORD dst_unused:UNUSED_PAD src0_sel:DWORD src1_sel:WORD_1
	v_fma_f16 v13, v31, v14, -v13
	v_fma_f16 v14, v38, v14, v30
	v_pack_b32_f16 v13, v13, v14
	ds_write2_b32 v18, v3, v13 offset1:1
	s_waitcnt lgkmcnt(3)
	v_lshrrev_b32_e32 v3, 16, v32
	v_mul_f16_sdwa v13, v32, v15 dst_sel:DWORD dst_unused:UNUSED_PAD src0_sel:DWORD src1_sel:WORD_1
	v_fma_f16 v13, v3, v15, v13
	v_mul_f16_sdwa v3, v3, v15 dst_sel:DWORD dst_unused:UNUSED_PAD src0_sel:DWORD src1_sel:WORD_1
	v_lshrrev_b32_e32 v14, 16, v33
	v_fma_f16 v3, v32, v15, -v3
	v_mul_f16_sdwa v15, v14, v16 dst_sel:DWORD dst_unused:UNUSED_PAD src0_sel:DWORD src1_sel:WORD_1
	v_mul_f16_sdwa v30, v33, v16 dst_sel:DWORD dst_unused:UNUSED_PAD src0_sel:DWORD src1_sel:WORD_1
	v_fma_f16 v15, v33, v16, -v15
	v_fma_f16 v14, v14, v16, v30
	v_pack_b32_f16 v14, v15, v14
	v_pack_b32_f16 v3, v3, v13
	ds_write2_b32 v18, v3, v14 offset0:2 offset1:3
	s_waitcnt lgkmcnt(3)
	v_lshrrev_b32_e32 v3, 16, v34
	v_mul_f16_sdwa v13, v34, v17 dst_sel:DWORD dst_unused:UNUSED_PAD src0_sel:DWORD src1_sel:WORD_1
	v_lshrrev_b32_e32 v14, 16, v35
	v_fma_f16 v13, v3, v17, v13
	v_mul_f16_sdwa v3, v3, v17 dst_sel:DWORD dst_unused:UNUSED_PAD src0_sel:DWORD src1_sel:WORD_1
	s_waitcnt vmcnt(1)
	v_mul_f16_sdwa v15, v14, v24 dst_sel:DWORD dst_unused:UNUSED_PAD src0_sel:DWORD src1_sel:WORD_1
	v_mul_f16_sdwa v16, v35, v24 dst_sel:DWORD dst_unused:UNUSED_PAD src0_sel:DWORD src1_sel:WORD_1
	v_fma_f16 v3, v34, v17, -v3
	v_fma_f16 v15, v35, v24, -v15
	v_fma_f16 v14, v14, v24, v16
	v_pack_b32_f16 v14, v15, v14
	v_pack_b32_f16 v3, v3, v13
	ds_write2_b32 v18, v3, v14 offset0:4 offset1:5
	s_waitcnt lgkmcnt(3)
	v_lshrrev_b32_e32 v3, 16, v36
	v_mul_f16_sdwa v14, v3, v25 dst_sel:DWORD dst_unused:UNUSED_PAD src0_sel:DWORD src1_sel:WORD_1
	v_lshrrev_b32_e32 v13, 16, v37
	v_fma_f16 v15, v36, v25, -v14
	v_mul_f16_sdwa v14, v36, v25 dst_sel:DWORD dst_unused:UNUSED_PAD src0_sel:DWORD src1_sel:WORD_1
	v_fma_f16 v3, v3, v25, v14
	v_mul_f16_sdwa v14, v13, v26 dst_sel:DWORD dst_unused:UNUSED_PAD src0_sel:DWORD src1_sel:WORD_1
	v_fma_f16 v16, v37, v26, -v14
	v_mul_f16_sdwa v14, v37, v26 dst_sel:DWORD dst_unused:UNUSED_PAD src0_sel:DWORD src1_sel:WORD_1
	v_fma_f16 v17, v13, v26, v14
	ds_read2_b32 v[13:14], v18 offset0:8 offset1:9
	v_pack_b32_f16 v16, v16, v17
	v_pack_b32_f16 v3, v15, v3
	ds_write2_b32 v18, v3, v16 offset0:6 offset1:7
	ds_read_b32 v3, v18 offset:40
	s_waitcnt lgkmcnt(2)
	v_lshrrev_b32_e32 v15, 16, v13
	v_mul_f16_sdwa v17, v15, v27 dst_sel:DWORD dst_unused:UNUSED_PAD src0_sel:DWORD src1_sel:WORD_1
	v_lshrrev_b32_e32 v16, 16, v14
	v_fma_f16 v17, v13, v27, -v17
	v_mul_f16_sdwa v13, v13, v27 dst_sel:DWORD dst_unused:UNUSED_PAD src0_sel:DWORD src1_sel:WORD_1
	v_fma_f16 v13, v15, v27, v13
	s_waitcnt vmcnt(0)
	v_mul_f16_sdwa v15, v16, v28 dst_sel:DWORD dst_unused:UNUSED_PAD src0_sel:DWORD src1_sel:WORD_1
	v_fma_f16 v15, v14, v28, -v15
	v_mul_f16_sdwa v14, v14, v28 dst_sel:DWORD dst_unused:UNUSED_PAD src0_sel:DWORD src1_sel:WORD_1
	v_fma_f16 v14, v16, v28, v14
	v_pack_b32_f16 v14, v15, v14
	v_pack_b32_f16 v13, v17, v13
	ds_write2_b32 v18, v13, v14 offset0:8 offset1:9
	s_waitcnt lgkmcnt(1)
	v_lshrrev_b32_e32 v13, 16, v3
	v_mul_f16_sdwa v14, v13, v29 dst_sel:DWORD dst_unused:UNUSED_PAD src0_sel:DWORD src1_sel:WORD_1
	v_fma_f16 v14, v3, v29, -v14
	v_mul_f16_sdwa v3, v3, v29 dst_sel:DWORD dst_unused:UNUSED_PAD src0_sel:DWORD src1_sel:WORD_1
	v_fma_f16 v3, v13, v29, v3
	v_pack_b32_f16 v3, v14, v3
	ds_write_b32 v18, v3 offset:40
	s_waitcnt lgkmcnt(0)
	s_barrier
	ds_read_b32 v3, v18
	ds_read2_b32 v[13:14], v18 offset0:1 offset1:2
	ds_read2_b32 v[15:16], v18 offset0:5 offset1:6
	;; [unrolled: 1-line block ×5, first 2 shown]
	s_waitcnt lgkmcnt(4)
	v_add_f16_e32 v17, v13, v3
	v_add_f16_sdwa v30, v13, v3 dst_sel:DWORD dst_unused:UNUSED_PAD src0_sel:WORD_1 src1_sel:WORD_1
	v_add_f16_e32 v17, v17, v14
	v_add_f16_sdwa v30, v30, v14 dst_sel:DWORD dst_unused:UNUSED_PAD src0_sel:DWORD src1_sel:WORD_1
	s_waitcnt lgkmcnt(2)
	v_add_f16_e32 v17, v17, v24
	v_add_f16_sdwa v30, v30, v24 dst_sel:DWORD dst_unused:UNUSED_PAD src0_sel:DWORD src1_sel:WORD_1
	v_add_f16_e32 v17, v17, v25
	v_add_f16_sdwa v30, v30, v25 dst_sel:DWORD dst_unused:UNUSED_PAD src0_sel:DWORD src1_sel:WORD_1
	;; [unrolled: 2-line block ×4, first 2 shown]
	s_waitcnt lgkmcnt(1)
	v_add_f16_e32 v17, v17, v26
	v_add_f16_sdwa v30, v30, v26 dst_sel:DWORD dst_unused:UNUSED_PAD src0_sel:DWORD src1_sel:WORD_1
	v_add_f16_e32 v17, v17, v27
	v_add_f16_sdwa v30, v30, v27 dst_sel:DWORD dst_unused:UNUSED_PAD src0_sel:DWORD src1_sel:WORD_1
	s_waitcnt lgkmcnt(0)
	v_add_f16_e32 v17, v17, v28
	v_add_f16_sdwa v30, v30, v28 dst_sel:DWORD dst_unused:UNUSED_PAD src0_sel:DWORD src1_sel:WORD_1
	v_add_f16_e32 v17, v17, v29
	v_add_f16_sdwa v30, v30, v29 dst_sel:WORD_1 dst_unused:UNUSED_PAD src0_sel:DWORD src1_sel:WORD_1
	v_or_b32_e32 v17, v30, v17
	v_pk_add_f16 v30, v29, v13
	v_pk_add_f16 v13, v13, v29 neg_lo:[0,1] neg_hi:[0,1]
	v_mul_f16_sdwa v29, v13, s15 dst_sel:DWORD dst_unused:UNUSED_PAD src0_sel:WORD_1 src1_sel:DWORD
	v_mul_f16_sdwa v34, v13, s7 dst_sel:DWORD dst_unused:UNUSED_PAD src0_sel:WORD_1 src1_sel:DWORD
	;; [unrolled: 1-line block ×4, first 2 shown]
	v_pk_add_f16 v31, v28, v14
	v_pk_add_f16 v14, v14, v28 neg_lo:[0,1] neg_hi:[0,1]
	v_pk_add_f16 v28, v27, v24
	v_pk_add_f16 v24, v24, v27 neg_lo:[0,1] neg_hi:[0,1]
	;; [unrolled: 2-line block ×3, first 2 shown]
	v_fma_f16 v26, v30, s1, v29
	v_mul_f16_sdwa v32, v30, s1 dst_sel:DWORD dst_unused:UNUSED_PAD src0_sel:WORD_1 src1_sel:DWORD
	v_fma_f16 v29, v30, s1, -v29
	v_fma_f16 v35, v30, s0, v34
	v_fma_f16 v34, v30, s0, -v34
	v_mul_f16_sdwa v36, v30, s0 dst_sel:DWORD dst_unused:UNUSED_PAD src0_sel:WORD_1 src1_sel:DWORD
	v_fma_f16 v39, v30, s2, v38
	v_fma_f16 v38, v30, s2, -v38
	v_mul_f16_sdwa v40, v30, s2 dst_sel:DWORD dst_unused:UNUSED_PAD src0_sel:WORD_1 src1_sel:DWORD
	;; [unrolled: 3-line block ×3, first 2 shown]
	v_pk_mul_f16 v30, v30, s12 op_sel_hi:[1,0]
	v_fma_f16 v33, v13, s16, v32
	v_fma_f16 v32, v13, s15, v32
	v_fma_f16 v37, v13, s13, v36
	v_fma_f16 v36, v13, s7, v36
	v_fma_f16 v41, v13, s18, v40
	v_fma_f16 v40, v13, s6, v40
	v_fma_f16 v45, v13, s19, v44
	v_fma_f16 v44, v13, s14, v44
	v_pk_fma_f16 v46, v13, s17, v30 op_sel:[0,0,1] op_sel_hi:[1,0,0]
	v_pk_fma_f16 v13, v13, s17, v30 op_sel:[0,0,1] op_sel_hi:[1,0,0] neg_lo:[1,0,0] neg_hi:[1,0,0]
	v_add_f16_e32 v26, v26, v3
	v_add_f16_sdwa v30, v33, v3 dst_sel:DWORD dst_unused:UNUSED_PAD src0_sel:DWORD src1_sel:WORD_1
	v_add_f16_e32 v29, v29, v3
	v_add_f16_sdwa v32, v32, v3 dst_sel:DWORD dst_unused:UNUSED_PAD src0_sel:DWORD src1_sel:WORD_1
	;; [unrolled: 2-line block ×8, first 2 shown]
	v_pk_add_f16 v45, v46, v3 op_sel:[0,1] op_sel_hi:[1,0]
	v_pk_add_f16 v3, v13, v3 op_sel:[0,1] op_sel_hi:[1,0]
	v_mul_f16_sdwa v13, v14, s7 dst_sel:DWORD dst_unused:UNUSED_PAD src0_sel:WORD_1 src1_sel:DWORD
	v_fma_f16 v46, v31, s0, v13
	v_add_f16_e32 v26, v46, v26
	v_mul_f16_sdwa v46, v31, s0 dst_sel:DWORD dst_unused:UNUSED_PAD src0_sel:WORD_1 src1_sel:DWORD
	v_fma_f16 v13, v31, s0, -v13
	v_add_f16_e32 v13, v13, v29
	v_fma_f16 v29, v14, s7, v46
	v_add_f16_e32 v29, v29, v32
	v_mul_f16_sdwa v32, v14, s14 dst_sel:DWORD dst_unused:UNUSED_PAD src0_sel:WORD_1 src1_sel:DWORD
	v_fma_f16 v47, v14, s13, v46
	v_fma_f16 v46, v31, s3, v32
	v_add_f16_e32 v33, v46, v33
	v_mul_f16_sdwa v46, v31, s3 dst_sel:DWORD dst_unused:UNUSED_PAD src0_sel:WORD_1 src1_sel:DWORD
	v_fma_f16 v32, v31, s3, -v32
	v_add_f16_e32 v32, v32, v34
	v_fma_f16 v34, v14, s14, v46
	v_add_f16_e32 v34, v34, v36
	v_mul_f16_sdwa v36, v14, s20 dst_sel:DWORD dst_unused:UNUSED_PAD src0_sel:WORD_1 src1_sel:DWORD
	v_add_f16_e32 v30, v47, v30
	v_fma_f16 v47, v14, s19, v46
	v_fma_f16 v46, v31, s12, v36
	v_add_f16_e32 v37, v46, v37
	v_mul_f16_sdwa v46, v31, s12 dst_sel:DWORD dst_unused:UNUSED_PAD src0_sel:WORD_1 src1_sel:DWORD
	v_fma_f16 v36, v31, s12, -v36
	v_add_f16_e32 v36, v36, v38
	v_fma_f16 v38, v14, s20, v46
	v_add_f16_e32 v38, v38, v40
	v_mul_f16_sdwa v40, v14, s18 dst_sel:DWORD dst_unused:UNUSED_PAD src0_sel:WORD_1 src1_sel:DWORD
	v_add_f16_e32 v35, v47, v35
	v_fma_f16 v47, v14, s17, v46
	v_fma_f16 v46, v31, s2, v40
	v_add_f16_e32 v41, v46, v41
	v_mul_f16_sdwa v46, v31, s2 dst_sel:DWORD dst_unused:UNUSED_PAD src0_sel:WORD_1 src1_sel:DWORD
	v_fma_f16 v40, v31, s2, -v40
	v_add_f16_e32 v40, v40, v42
	v_fma_f16 v42, v14, s18, v46
	v_pk_mul_f16 v31, v31, s1 op_sel_hi:[1,0]
	v_add_f16_e32 v39, v47, v39
	v_fma_f16 v47, v14, s6, v46
	v_add_f16_e32 v42, v42, v44
	v_pk_fma_f16 v44, v14, s16, v31 op_sel:[0,0,1] op_sel_hi:[1,0,0]
	v_pk_fma_f16 v14, v14, s16, v31 op_sel:[0,0,1] op_sel_hi:[1,0,0] neg_lo:[1,0,0] neg_hi:[1,0,0]
	v_pk_add_f16 v3, v14, v3
	v_mul_f16_sdwa v14, v24, s6 dst_sel:DWORD dst_unused:UNUSED_PAD src0_sel:WORD_1 src1_sel:DWORD
	v_fma_f16 v31, v28, s2, v14
	v_add_f16_e32 v26, v31, v26
	v_mul_f16_sdwa v31, v28, s2 dst_sel:DWORD dst_unused:UNUSED_PAD src0_sel:WORD_1 src1_sel:DWORD
	v_fma_f16 v14, v28, s2, -v14
	v_add_f16_e32 v13, v14, v13
	v_fma_f16 v14, v24, s6, v31
	v_add_f16_e32 v14, v14, v29
	v_mul_f16_sdwa v29, v24, s20 dst_sel:DWORD dst_unused:UNUSED_PAD src0_sel:WORD_1 src1_sel:DWORD
	v_pk_add_f16 v44, v44, v45
	v_fma_f16 v45, v24, s18, v31
	v_fma_f16 v31, v28, s12, v29
	v_add_f16_e32 v31, v31, v33
	v_mul_f16_sdwa v33, v28, s12 dst_sel:DWORD dst_unused:UNUSED_PAD src0_sel:WORD_1 src1_sel:DWORD
	v_fma_f16 v29, v28, s12, -v29
	v_add_f16_e32 v30, v45, v30
	v_fma_f16 v45, v24, s17, v33
	v_add_f16_e32 v29, v29, v32
	v_fma_f16 v32, v24, s20, v33
	v_mul_f16_sdwa v33, v24, s13 dst_sel:DWORD dst_unused:UNUSED_PAD src0_sel:WORD_1 src1_sel:DWORD
	v_add_f16_e32 v32, v32, v34
	v_fma_f16 v34, v28, s0, v33
	v_add_f16_e32 v34, v34, v37
	v_mul_f16_sdwa v37, v28, s0 dst_sel:DWORD dst_unused:UNUSED_PAD src0_sel:WORD_1 src1_sel:DWORD
	v_fma_f16 v33, v28, s0, -v33
	v_add_f16_e32 v35, v45, v35
	v_fma_f16 v45, v24, s7, v37
	v_add_f16_e32 v33, v33, v36
	v_fma_f16 v36, v24, s13, v37
	v_mul_f16_sdwa v37, v24, s15 dst_sel:DWORD dst_unused:UNUSED_PAD src0_sel:WORD_1 src1_sel:DWORD
	v_add_f16_e32 v36, v36, v38
	v_fma_f16 v38, v28, s1, v37
	v_add_f16_e32 v38, v38, v41
	v_mul_f16_sdwa v41, v28, s1 dst_sel:DWORD dst_unused:UNUSED_PAD src0_sel:WORD_1 src1_sel:DWORD
	v_fma_f16 v37, v28, s1, -v37
	v_pk_mul_f16 v28, v28, s3 op_sel_hi:[1,0]
	v_add_f16_e32 v39, v45, v39
	v_fma_f16 v45, v24, s16, v41
	v_add_f16_e32 v37, v37, v40
	v_fma_f16 v40, v24, s15, v41
	v_pk_fma_f16 v41, v24, s14, v28 op_sel:[0,0,1] op_sel_hi:[1,0,0]
	v_pk_fma_f16 v24, v24, s14, v28 op_sel:[0,0,1] op_sel_hi:[1,0,0] neg_lo:[1,0,0] neg_hi:[1,0,0]
	v_pk_add_f16 v3, v24, v3
	v_mul_f16_sdwa v24, v25, s14 dst_sel:DWORD dst_unused:UNUSED_PAD src0_sel:WORD_1 src1_sel:DWORD
	v_fma_f16 v28, v27, s3, v24
	v_add_f16_e32 v26, v28, v26
	v_mul_f16_sdwa v28, v27, s3 dst_sel:DWORD dst_unused:UNUSED_PAD src0_sel:WORD_1 src1_sel:DWORD
	v_fma_f16 v24, v27, s3, -v24
	v_add_f16_e32 v13, v24, v13
	v_fma_f16 v24, v25, s14, v28
	v_add_f16_e32 v14, v24, v14
	v_mul_f16_sdwa v24, v25, s18 dst_sel:DWORD dst_unused:UNUSED_PAD src0_sel:WORD_1 src1_sel:DWORD
	v_add_f16_e32 v40, v40, v42
	v_fma_f16 v42, v25, s19, v28
	v_fma_f16 v28, v27, s2, v24
	v_add_f16_e32 v28, v28, v31
	v_mul_f16_sdwa v31, v27, s2 dst_sel:DWORD dst_unused:UNUSED_PAD src0_sel:WORD_1 src1_sel:DWORD
	v_fma_f16 v24, v27, s2, -v24
	v_add_f16_e32 v30, v42, v30
	v_fma_f16 v42, v25, s6, v31
	v_add_f16_e32 v24, v24, v29
	v_fma_f16 v29, v25, s18, v31
	v_mul_f16_sdwa v31, v25, s15 dst_sel:DWORD dst_unused:UNUSED_PAD src0_sel:WORD_1 src1_sel:DWORD
	v_add_f16_e32 v29, v29, v32
	v_fma_f16 v32, v27, s1, v31
	v_add_f16_e32 v32, v32, v34
	v_mul_f16_sdwa v34, v27, s1 dst_sel:DWORD dst_unused:UNUSED_PAD src0_sel:WORD_1 src1_sel:DWORD
	v_fma_f16 v31, v27, s1, -v31
	v_add_f16_e32 v35, v42, v35
	v_fma_f16 v42, v25, s16, v34
	v_add_f16_e32 v31, v31, v33
	v_fma_f16 v33, v25, s15, v34
	v_mul_f16_sdwa v34, v25, s17 dst_sel:DWORD dst_unused:UNUSED_PAD src0_sel:WORD_1 src1_sel:DWORD
	v_add_f16_e32 v33, v33, v36
	v_fma_f16 v36, v27, s12, v34
	v_add_f16_e32 v36, v36, v38
	v_mul_f16_sdwa v38, v27, s12 dst_sel:DWORD dst_unused:UNUSED_PAD src0_sel:WORD_1 src1_sel:DWORD
	v_fma_f16 v34, v27, s12, -v34
	v_pk_mul_f16 v27, v27, s0 op_sel_hi:[1,0]
	v_add_f16_e32 v39, v42, v39
	v_fma_f16 v42, v25, s20, v38
	v_add_f16_e32 v34, v34, v37
	v_fma_f16 v37, v25, s17, v38
	v_pk_fma_f16 v38, v25, s13, v27 op_sel:[0,0,1] op_sel_hi:[1,0,0]
	v_pk_fma_f16 v25, v25, s13, v27 op_sel:[0,0,1] op_sel_hi:[1,0,0] neg_lo:[1,0,0] neg_hi:[1,0,0]
	v_pk_add_f16 v3, v25, v3
	v_alignbit_b32 v25, v16, v15, 16
	v_alignbit_b32 v27, v15, v16, 16
	v_pk_add_f16 v25, v25, v27
	v_pk_add_f16 v15, v15, v16 neg_lo:[0,1] neg_hi:[0,1]
	v_lshrrev_b32_e32 v16, 16, v25
	v_mul_f16_sdwa v27, v15, s17 dst_sel:DWORD dst_unused:UNUSED_PAD src0_sel:WORD_1 src1_sel:DWORD
	v_add_f16_e32 v37, v37, v40
	v_fma_f16 v40, v16, s12, v27
	v_add_f16_e32 v26, v40, v26
	v_mul_f16_e32 v40, 0xbbad, v25
	v_fma_f16 v27, v16, s12, -v27
	v_add_f16_e32 v13, v27, v13
	v_fma_f16 v27, v15, s17, v40
	v_pk_add_f16 v41, v41, v44
	v_add_f16_e32 v14, v27, v14
	v_mul_f16_sdwa v27, v15, s16 dst_sel:DWORD dst_unused:UNUSED_PAD src0_sel:WORD_1 src1_sel:DWORD
	v_pk_add_f16 v38, v38, v41
	v_fma_f16 v41, v15, s20, v40
	v_fma_f16 v40, v16, s1, v27
	v_add_f16_e32 v28, v40, v28
	v_mul_f16_e32 v40, 0x3abb, v25
	v_fma_f16 v27, v16, s1, -v27
	v_add_f16_e32 v24, v27, v24
	v_fma_f16 v27, v15, s16, v40
	v_add_f16_e32 v27, v27, v29
	v_mul_f16_sdwa v29, v15, s14 dst_sel:DWORD dst_unused:UNUSED_PAD src0_sel:WORD_1 src1_sel:DWORD
	v_add_f16_e32 v30, v41, v30
	v_fma_f16 v41, v15, s15, v40
	v_fma_f16 v40, v16, s3, v29
	v_add_f16_e32 v32, v40, v32
	v_mul_f16_e32 v40, 0xb93d, v25
	v_fma_f16 v29, v16, s3, -v29
	v_add_f16_e32 v29, v29, v31
	v_fma_f16 v31, v15, s14, v40
	v_add_f16_e32 v31, v31, v33
	v_mul_f16_sdwa v33, v15, s13 dst_sel:DWORD dst_unused:UNUSED_PAD src0_sel:WORD_1 src1_sel:DWORD
	v_add_f16_e32 v35, v41, v35
	v_fma_f16 v41, v15, s19, v40
	v_fma_f16 v40, v16, s0, v33
	v_add_f16_e32 v43, v47, v43
	v_add_f16_e32 v36, v40, v36
	v_mul_f16_e32 v40, 0x36a6, v25
	v_add_f16_e32 v43, v45, v43
	v_add_f16_e32 v39, v41, v39
	v_fma_f16 v41, v15, s7, v40
	v_fma_f16 v16, v16, s0, -v33
	v_fma_f16 v33, v15, s13, v40
	v_pk_mul_f16 v15, v15, s6 op_sel_hi:[1,0]
	v_add_f16_e32 v42, v42, v43
	v_add_f16_e32 v16, v16, v34
	v_pk_fma_f16 v34, v25, s2, v15 op_sel_hi:[1,0,1]
	v_pk_fma_f16 v15, v25, s2, v15 op_sel_hi:[1,0,1] neg_lo:[0,0,1] neg_hi:[0,0,1]
	v_add_f16_e32 v41, v41, v42
	v_pk_add_f16 v3, v15, v3
	ds_write_b32 v18, v17
	v_pack_b32_f16 v15, v28, v35
	v_pack_b32_f16 v17, v26, v30
	v_pk_add_f16 v34, v34, v38
	ds_write2_b32 v18, v17, v15 offset0:1 offset1:2
	v_pack_b32_f16 v15, v36, v41
	v_pack_b32_f16 v17, v32, v39
	v_add_f16_e32 v33, v33, v37
	ds_write2_b32 v18, v17, v15 offset0:3 offset1:4
	v_alignbit_b32 v15, v34, v3, 16
	v_alignbit_b32 v3, v3, v34, 16
	ds_write2_b32 v18, v3, v15 offset0:5 offset1:6
	v_pack_b32_f16 v3, v29, v31
	v_pack_b32_f16 v15, v16, v33
	ds_write2_b32 v18, v15, v3 offset0:7 offset1:8
	v_pack_b32_f16 v3, v13, v14
	v_pack_b32_f16 v13, v24, v27
	ds_write2_b32 v18, v13, v3 offset0:9 offset1:10
	s_waitcnt lgkmcnt(0)
	s_barrier
	ds_read2_b32 v[16:17], v18 offset1:1
	ds_read2_b32 v[24:25], v18 offset0:2 offset1:3
	ds_read2_b32 v[26:27], v18 offset0:4 offset1:5
	;; [unrolled: 1-line block ×3, first 2 shown]
	s_mov_b32 s2, 0x745d1746
	s_waitcnt lgkmcnt(3)
	v_lshrrev_b32_e32 v32, 16, v16
	v_mul_f16_sdwa v3, v8, v16 dst_sel:DWORD dst_unused:UNUSED_PAD src0_sel:WORD_1 src1_sel:DWORD
	v_fma_f16 v3, v8, v32, -v3
	v_cvt_f32_f16_e32 v3, v3
	s_mov_b32 s3, 0x3fb745d1
	v_mad_u64_u32 v[28:29], s[0:1], s10, v12, 0
	v_cvt_f64_f32_e32 v[30:31], v3
	v_lshrrev_b32_e32 v34, 16, v17
	v_mov_b32_e32 v3, v29
	v_mad_u64_u32 v[12:13], s[0:1], s11, v12, v[3:4]
	v_mul_f64 v[30:31], v[30:31], s[2:3]
	s_load_dwordx2 s[0:1], s[4:5], 0x38
	s_movk_i32 s5, 0x1ff
	v_mov_b32_e32 v29, v12
	s_movk_i32 s4, 0xffe
	v_mul_f16_sdwa v32, v8, v32 dst_sel:DWORD dst_unused:UNUSED_PAD src0_sel:WORD_1 src1_sel:DWORD
	v_fma_f16 v8, v8, v16, v32
	v_cvt_f32_f16_e32 v8, v8
	v_and_or_b32 v3, v31, s5, v30
	v_cmp_ne_u32_e32 vcc, 0, v3
	v_cndmask_b32_e64 v3, 0, 1, vcc
	v_lshrrev_b32_e32 v12, 8, v31
	v_and_or_b32 v30, v12, s4, v3
	v_mul_f16_e32 v3, v23, v34
	v_fma_f16 v3, v9, v17, v3
	v_cvt_f32_f16_e32 v3, v3
	v_lshlrev_b64 v[12:13], 2, v[28:29]
	s_waitcnt lgkmcnt(0)
	v_mov_b32_e32 v33, s1
	v_add_co_u32_e32 v12, vcc, s0, v12
	v_cvt_f64_f32_e32 v[28:29], v3
	v_addc_co_u32_e32 v13, vcc, v33, v13, vcc
	v_cvt_f64_f32_e32 v[32:33], v8
	v_mul_f64 v[28:29], v[28:29], s[2:3]
	v_bfe_u32 v36, v31, 20, 11
	v_sub_u32_e32 v3, 0x3f1, v36
	v_or_b32_e32 v35, 0x1000, v30
	v_med3_i32 v3, v3, 0, 13
	v_lshrrev_b32_e32 v16, v3, v35
	v_mul_f64 v[32:33], v[32:33], s[2:3]
	v_lshlrev_b32_e32 v37, v3, v16
	v_and_or_b32 v3, v29, s5, v28
	v_cmp_ne_u32_e32 vcc, 0, v3
	v_cndmask_b32_e64 v3, 0, 1, vcc
	v_lshrrev_b32_e32 v8, 8, v29
	v_and_or_b32 v28, v8, s4, v3
	v_bfe_u32 v8, v29, 20, 11
	v_sub_u32_e32 v3, 0x3f1, v8
	v_med3_i32 v3, v3, 0, 13
	v_or_b32_e32 v38, 0x1000, v28
	v_lshrrev_b32_e32 v39, v3, v38
	v_lshlrev_b32_e32 v40, v3, v39
	v_and_or_b32 v3, v33, s5, v32
	v_cmp_ne_u32_e32 vcc, 0, v3
	v_cndmask_b32_e64 v3, 0, 1, vcc
	v_lshrrev_b32_e32 v32, 8, v33
	v_and_or_b32 v32, v32, s4, v3
	v_bfe_u32 v3, v33, 20, 11
	v_sub_u32_e32 v41, 0x3f1, v3
	v_med3_i32 v41, v41, 0, 13
	v_or_b32_e32 v42, 0x1000, v32
	v_lshrrev_b32_e32 v43, v41, v42
	v_lshlrev_b32_e32 v41, v41, v43
	v_cmp_ne_u32_e32 vcc, v41, v42
	v_cndmask_b32_e64 v41, 0, 1, vcc
	v_add_u32_e32 v42, 0xfffffc10, v3
	v_or_b32_e32 v41, v43, v41
	v_lshl_or_b32 v3, v42, 12, v32
	v_cmp_gt_i32_e32 vcc, 1, v42
	v_cndmask_b32_e32 v3, v3, v41, vcc
	v_and_b32_e32 v41, 7, v3
	v_cmp_lt_i32_e32 vcc, 5, v41
	v_cmp_eq_u32_e64 s[0:1], 3, v41
	v_lshrrev_b32_e32 v3, 2, v3
	s_or_b64 vcc, s[0:1], vcc
	v_addc_co_u32_e32 v41, vcc, 0, v3, vcc
	v_mov_b32_e32 v3, 0x7c00
	v_cmp_gt_i32_e32 vcc, 31, v42
	v_cndmask_b32_e32 v41, v3, v41, vcc
	v_cmp_ne_u32_e32 vcc, 0, v32
	v_cndmask_b32_e64 v32, 0, 1, vcc
	s_movk_i32 s7, 0x40f
	v_lshl_or_b32 v32, v32, 9, v3
	v_cmp_eq_u32_e32 vcc, s7, v42
	v_cndmask_b32_e32 v32, v41, v32, vcc
	v_lshrrev_b32_e32 v33, 16, v33
	s_mov_b32 s6, 0x8000
	v_cmp_ne_u32_e32 vcc, v37, v35
	v_and_or_b32 v32, v33, s6, v32
	v_cndmask_b32_e64 v33, 0, 1, vcc
	v_or_b32_e32 v16, v16, v33
	v_add_u32_e32 v33, 0xfffffc10, v36
	v_lshl_or_b32 v35, v33, 12, v30
	v_cmp_gt_i32_e32 vcc, 1, v33
	v_cndmask_b32_e32 v16, v35, v16, vcc
	v_and_b32_e32 v35, 7, v16
	v_cmp_lt_i32_e32 vcc, 5, v35
	v_cmp_eq_u32_e64 s[0:1], 3, v35
	v_lshrrev_b32_e32 v16, 2, v16
	s_or_b64 vcc, s[0:1], vcc
	v_addc_co_u32_e32 v16, vcc, 0, v16, vcc
	v_cmp_gt_i32_e32 vcc, 31, v33
	v_cndmask_b32_e32 v16, v3, v16, vcc
	v_cmp_ne_u32_e32 vcc, 0, v30
	v_cndmask_b32_e64 v30, 0, 1, vcc
	v_lshl_or_b32 v30, v30, 9, v3
	v_cmp_eq_u32_e32 vcc, s7, v33
	v_cndmask_b32_e32 v16, v16, v30, vcc
	v_lshrrev_b32_e32 v30, 16, v31
	v_and_or_b32 v16, v30, s6, v16
	v_and_b32_e32 v30, 0xffff, v32
	v_mul_f16_e32 v17, v23, v17
	v_lshl_or_b32 v16, v16, 16, v30
	v_cmp_ne_u32_e32 vcc, v40, v38
	v_fma_f16 v9, v9, v34, -v17
	global_store_dword v[12:13], v16, off
	v_cndmask_b32_e64 v16, 0, 1, vcc
	v_add_u32_e32 v30, 0xfffffc10, v8
	v_cvt_f32_f16_e32 v9, v9
	v_or_b32_e32 v16, v39, v16
	v_lshl_or_b32 v8, v30, 12, v28
	v_cmp_gt_i32_e32 vcc, 1, v30
	v_cndmask_b32_e32 v8, v8, v16, vcc
	v_and_b32_e32 v16, 7, v8
	v_cmp_lt_i32_e32 vcc, 5, v16
	v_cmp_eq_u32_e64 s[0:1], 3, v16
	v_lshrrev_b32_e32 v16, 2, v8
	v_cvt_f64_f32_e32 v[8:9], v9
	s_or_b64 vcc, s[0:1], vcc
	v_addc_co_u32_e32 v16, vcc, 0, v16, vcc
	v_mul_f64 v[8:9], v[8:9], s[2:3]
	v_cmp_gt_i32_e32 vcc, 31, v30
	v_cndmask_b32_e32 v16, v3, v16, vcc
	v_cmp_ne_u32_e32 vcc, 0, v28
	v_cndmask_b32_e64 v17, 0, 1, vcc
	v_lshl_or_b32 v17, v17, 9, v3
	v_cmp_eq_u32_e32 vcc, s7, v30
	v_cndmask_b32_e32 v16, v16, v17, vcc
	v_and_or_b32 v8, v9, s5, v8
	v_lshrrev_b32_e32 v17, 16, v29
	v_cmp_ne_u32_e32 vcc, 0, v8
	v_and_or_b32 v16, v17, s6, v16
	v_cndmask_b32_e64 v8, 0, 1, vcc
	v_lshrrev_b32_e32 v17, 8, v9
	v_bfe_u32 v23, v9, 20, 11
	v_and_or_b32 v8, v17, s4, v8
	v_sub_u32_e32 v28, 0x3f1, v23
	v_or_b32_e32 v17, 0x1000, v8
	v_med3_i32 v28, v28, 0, 13
	v_lshrrev_b32_e32 v29, v28, v17
	v_lshlrev_b32_e32 v28, v28, v29
	v_cmp_ne_u32_e32 vcc, v28, v17
	v_cndmask_b32_e64 v17, 0, 1, vcc
	v_add_u32_e32 v23, 0xfffffc10, v23
	v_or_b32_e32 v17, v29, v17
	v_lshl_or_b32 v28, v23, 12, v8
	v_cmp_gt_i32_e32 vcc, 1, v23
	v_cndmask_b32_e32 v17, v28, v17, vcc
	v_and_b32_e32 v28, 7, v17
	v_cmp_lt_i32_e32 vcc, 5, v28
	v_cmp_eq_u32_e64 s[0:1], 3, v28
	v_lshrrev_b32_e32 v17, 2, v17
	s_or_b64 vcc, s[0:1], vcc
	v_lshrrev_b32_e32 v28, 16, v24
	v_addc_co_u32_e32 v17, vcc, 0, v17, vcc
	v_mul_f16_sdwa v29, v10, v28 dst_sel:DWORD dst_unused:UNUSED_PAD src0_sel:WORD_1 src1_sel:DWORD
	v_cmp_gt_i32_e32 vcc, 31, v23
	v_fma_f16 v29, v10, v24, v29
	v_cndmask_b32_e32 v17, v3, v17, vcc
	v_cmp_ne_u32_e32 vcc, 0, v8
	v_cvt_f32_f16_e32 v29, v29
	v_cndmask_b32_e64 v8, 0, 1, vcc
	v_lshl_or_b32 v8, v8, 9, v3
	v_cmp_eq_u32_e32 vcc, s7, v23
	v_cndmask_b32_e32 v8, v17, v8, vcc
	v_lshrrev_b32_e32 v9, 16, v9
	v_and_or_b32 v17, v9, s6, v8
	v_cvt_f64_f32_e32 v[8:9], v29
	v_and_b32_e32 v16, 0xffff, v16
	s_lshl_b64 s[0:1], s[8:9], 2
	v_lshl_or_b32 v23, v17, 16, v16
	v_mul_f64 v[8:9], v[8:9], s[2:3]
	v_mov_b32_e32 v17, s1
	v_add_co_u32_e32 v16, vcc, s0, v12
	v_addc_co_u32_e32 v17, vcc, v13, v17, vcc
	global_store_dword v[16:17], v23, off
	v_mul_f16_sdwa v24, v10, v24 dst_sel:DWORD dst_unused:UNUSED_PAD src0_sel:WORD_1 src1_sel:DWORD
	v_and_or_b32 v8, v9, s5, v8
	v_cmp_ne_u32_e32 vcc, 0, v8
	v_cndmask_b32_e64 v8, 0, 1, vcc
	v_lshrrev_b32_e32 v16, 8, v9
	v_bfe_u32 v17, v9, 20, 11
	v_and_or_b32 v8, v16, s4, v8
	v_sub_u32_e32 v29, 0x3f1, v17
	v_or_b32_e32 v16, 0x1000, v8
	v_med3_i32 v29, v29, 0, 13
	v_lshrrev_b32_e32 v30, v29, v16
	v_lshlrev_b32_e32 v29, v29, v30
	v_cmp_ne_u32_e32 vcc, v29, v16
	v_fma_f16 v10, v10, v28, -v24
	v_cndmask_b32_e64 v16, 0, 1, vcc
	v_add_u32_e32 v29, 0xfffffc10, v17
	v_cvt_f32_f16_e32 v10, v10
	v_or_b32_e32 v16, v30, v16
	v_lshl_or_b32 v17, v29, 12, v8
	v_cmp_gt_i32_e32 vcc, 1, v29
	v_cndmask_b32_e32 v16, v17, v16, vcc
	v_and_b32_e32 v17, 7, v16
	v_cmp_lt_i32_e32 vcc, 5, v17
	v_cmp_eq_u32_e64 s[0:1], 3, v17
	v_lshrrev_b32_e32 v24, 2, v16
	v_cvt_f64_f32_e32 v[16:17], v10
	s_or_b64 vcc, s[0:1], vcc
	v_addc_co_u32_e32 v10, vcc, 0, v24, vcc
	v_mul_f64 v[16:17], v[16:17], s[2:3]
	v_cmp_gt_i32_e32 vcc, 31, v29
	v_cndmask_b32_e32 v10, v3, v10, vcc
	v_cmp_ne_u32_e32 vcc, 0, v8
	v_cndmask_b32_e64 v8, 0, 1, vcc
	v_lshl_or_b32 v8, v8, 9, v3
	v_cmp_eq_u32_e32 vcc, s7, v29
	v_cndmask_b32_e32 v8, v10, v8, vcc
	v_lshrrev_b32_e32 v9, 16, v9
	v_and_or_b32 v10, v9, s6, v8
	v_and_or_b32 v8, v17, s5, v16
	v_cmp_ne_u32_e32 vcc, 0, v8
	v_cndmask_b32_e64 v8, 0, 1, vcc
	v_lshrrev_b32_e32 v9, 8, v17
	v_bfe_u32 v16, v17, 20, 11
	v_and_or_b32 v8, v9, s4, v8
	v_sub_u32_e32 v24, 0x3f1, v16
	v_or_b32_e32 v9, 0x1000, v8
	v_med3_i32 v24, v24, 0, 13
	v_lshrrev_b32_e32 v28, v24, v9
	v_lshlrev_b32_e32 v24, v24, v28
	v_cmp_ne_u32_e32 vcc, v24, v9
	v_cndmask_b32_e64 v9, 0, 1, vcc
	v_add_u32_e32 v16, 0xfffffc10, v16
	v_or_b32_e32 v9, v28, v9
	v_lshl_or_b32 v24, v16, 12, v8
	v_cmp_gt_i32_e32 vcc, 1, v16
	v_cndmask_b32_e32 v9, v24, v9, vcc
	v_and_b32_e32 v24, 7, v9
	v_lshrrev_b32_e32 v23, 16, v25
	v_cmp_lt_i32_e32 vcc, 5, v24
	v_cmp_eq_u32_e64 s[0:1], 3, v24
	v_lshrrev_b32_e32 v9, 2, v9
	s_or_b64 vcc, s[0:1], vcc
	v_mul_f16_e32 v24, v22, v23
	v_addc_co_u32_e32 v9, vcc, 0, v9, vcc
	v_fma_f16 v24, v11, v25, v24
	v_cmp_gt_i32_e32 vcc, 31, v16
	v_cvt_f32_f16_e32 v24, v24
	v_cndmask_b32_e32 v9, v3, v9, vcc
	v_cmp_ne_u32_e32 vcc, 0, v8
	v_cndmask_b32_e64 v8, 0, 1, vcc
	v_lshl_or_b32 v8, v8, 9, v3
	v_cmp_eq_u32_e32 vcc, s7, v16
	v_cndmask_b32_e32 v16, v9, v8, vcc
	v_cvt_f64_f32_e32 v[8:9], v24
	v_lshrrev_b32_e32 v17, 16, v17
	v_and_or_b32 v16, v17, s6, v16
	v_and_b32_e32 v10, 0xffff, v10
	v_mul_f64 v[8:9], v[8:9], s[2:3]
	s_lshl_b64 s[0:1], s[8:9], 3
	v_lshl_or_b32 v10, v16, 16, v10
	v_mov_b32_e32 v17, s1
	v_add_co_u32_e32 v16, vcc, s0, v12
	v_addc_co_u32_e32 v17, vcc, v13, v17, vcc
	v_and_or_b32 v8, v9, s5, v8
	v_cmp_ne_u32_e32 vcc, 0, v8
	global_store_dword v[16:17], v10, off
	v_cndmask_b32_e64 v8, 0, 1, vcc
	v_lshrrev_b32_e32 v10, 8, v9
	v_bfe_u32 v16, v9, 20, 11
	v_and_or_b32 v8, v10, s4, v8
	v_sub_u32_e32 v17, 0x3f1, v16
	v_or_b32_e32 v10, 0x1000, v8
	v_med3_i32 v17, v17, 0, 13
	v_lshrrev_b32_e32 v24, v17, v10
	v_lshlrev_b32_e32 v17, v17, v24
	v_mul_f16_e32 v22, v22, v25
	v_cmp_ne_u32_e32 vcc, v17, v10
	v_fma_f16 v11, v11, v23, -v22
	v_cndmask_b32_e64 v10, 0, 1, vcc
	v_add_u32_e32 v16, 0xfffffc10, v16
	v_cvt_f32_f16_e32 v11, v11
	v_or_b32_e32 v10, v24, v10
	v_lshl_or_b32 v17, v16, 12, v8
	v_cmp_gt_i32_e32 vcc, 1, v16
	v_cndmask_b32_e32 v10, v17, v10, vcc
	v_and_b32_e32 v17, 7, v10
	v_cmp_lt_i32_e32 vcc, 5, v17
	v_cmp_eq_u32_e64 s[0:1], 3, v17
	v_lshrrev_b32_e32 v17, 2, v10
	v_cvt_f64_f32_e32 v[10:11], v11
	s_or_b64 vcc, s[0:1], vcc
	v_addc_co_u32_e32 v17, vcc, 0, v17, vcc
	v_mul_f64 v[10:11], v[10:11], s[2:3]
	v_cmp_gt_i32_e32 vcc, 31, v16
	v_cndmask_b32_e32 v17, v3, v17, vcc
	v_cmp_ne_u32_e32 vcc, 0, v8
	v_cndmask_b32_e64 v8, 0, 1, vcc
	v_lshl_or_b32 v8, v8, 9, v3
	v_cmp_eq_u32_e32 vcc, s7, v16
	v_cndmask_b32_e32 v8, v17, v8, vcc
	v_lshrrev_b32_e32 v9, 16, v9
	v_and_or_b32 v22, v9, s6, v8
	v_and_or_b32 v8, v11, s5, v10
	v_cmp_ne_u32_e32 vcc, 0, v8
	v_cndmask_b32_e64 v8, 0, 1, vcc
	v_lshrrev_b32_e32 v9, 8, v11
	v_bfe_u32 v10, v11, 20, 11
	v_and_or_b32 v8, v9, s4, v8
	v_sub_u32_e32 v16, 0x3f1, v10
	v_or_b32_e32 v9, 0x1000, v8
	v_med3_i32 v16, v16, 0, 13
	v_lshrrev_b32_e32 v17, v16, v9
	v_lshlrev_b32_e32 v16, v16, v17
	v_cmp_ne_u32_e32 vcc, v16, v9
	v_cndmask_b32_e64 v9, 0, 1, vcc
	v_add_u32_e32 v10, 0xfffffc10, v10
	v_or_b32_e32 v9, v17, v9
	v_lshl_or_b32 v16, v10, 12, v8
	v_cmp_gt_i32_e32 vcc, 1, v10
	v_cndmask_b32_e32 v9, v16, v9, vcc
	v_and_b32_e32 v16, 7, v9
	v_cmp_lt_i32_e32 vcc, 5, v16
	v_cmp_eq_u32_e64 s[0:1], 3, v16
	v_lshrrev_b32_e32 v9, 2, v9
	s_or_b64 vcc, s[0:1], vcc
	v_addc_co_u32_e32 v9, vcc, 0, v9, vcc
	v_cmp_gt_i32_e32 vcc, 31, v10
	v_lshrrev_b32_e32 v24, 16, v26
	v_cndmask_b32_e32 v23, v3, v9, vcc
	v_mul_f16_sdwa v9, v4, v24 dst_sel:DWORD dst_unused:UNUSED_PAD src0_sel:WORD_1 src1_sel:DWORD
	v_fma_f16 v9, v4, v26, v9
	v_cvt_f32_f16_e32 v16, v9
	v_cmp_ne_u32_e32 vcc, 0, v8
	v_cndmask_b32_e64 v8, 0, 1, vcc
	v_lshl_or_b32 v25, v8, 9, v3
	v_cvt_f64_f32_e32 v[16:17], v16
	v_cmp_eq_u32_e32 vcc, s7, v10
	v_cndmask_b32_e32 v23, v23, v25, vcc
	v_lshrrev_b32_e32 v25, 16, v11
	v_mul_f64 v[10:11], v[16:17], s[2:3]
	v_mad_u64_u32 v[8:9], s[0:1], s8, 12, v[12:13]
	v_mad_u64_u32 v[16:17], s[0:1], s9, 12, v[9:10]
	v_and_or_b32 v9, v25, s6, v23
	v_and_b32_e32 v17, 0xffff, v22
	v_lshl_or_b32 v17, v9, 16, v17
	v_mov_b32_e32 v9, v16
	global_store_dword v[8:9], v17, off
	v_and_or_b32 v8, v11, s5, v10
	v_cmp_ne_u32_e32 vcc, 0, v8
	v_cndmask_b32_e64 v8, 0, 1, vcc
	v_lshrrev_b32_e32 v9, 8, v11
	v_and_or_b32 v10, v9, s4, v8
	v_bfe_u32 v9, v11, 20, 11
	v_sub_u32_e32 v17, 0x3f1, v9
	v_or_b32_e32 v8, 0x1000, v10
	v_med3_i32 v17, v17, 0, 13
	v_lshrrev_b32_e32 v22, v17, v8
	v_lshlrev_b32_e32 v17, v17, v22
	v_cmp_ne_u32_e32 vcc, v17, v8
	v_cndmask_b32_e64 v8, 0, 1, vcc
	v_or_b32_e32 v8, v22, v8
	v_mul_f16_sdwa v22, v4, v26 dst_sel:DWORD dst_unused:UNUSED_PAD src0_sel:WORD_1 src1_sel:DWORD
	v_fma_f16 v4, v4, v24, -v22
	v_add_u32_e32 v17, 0xfffffc10, v9
	v_cvt_f32_f16_e32 v4, v4
	v_lshl_or_b32 v9, v17, 12, v10
	v_cmp_gt_i32_e32 vcc, 1, v17
	v_cndmask_b32_e32 v8, v9, v8, vcc
	v_and_b32_e32 v9, 7, v8
	v_cmp_lt_i32_e32 vcc, 5, v9
	v_cmp_eq_u32_e64 s[0:1], 3, v9
	v_lshrrev_b32_e32 v22, 2, v8
	v_cvt_f64_f32_e32 v[8:9], v4
	s_or_b64 vcc, s[0:1], vcc
	v_addc_co_u32_e32 v4, vcc, 0, v22, vcc
	v_mul_f64 v[8:9], v[8:9], s[2:3]
	v_cmp_gt_i32_e32 vcc, 31, v17
	v_cndmask_b32_e32 v4, v3, v4, vcc
	v_cmp_ne_u32_e32 vcc, 0, v10
	v_cndmask_b32_e64 v10, 0, 1, vcc
	v_lshl_or_b32 v10, v10, 9, v3
	v_cmp_eq_u32_e32 vcc, s7, v17
	v_cndmask_b32_e32 v4, v4, v10, vcc
	v_and_or_b32 v8, v9, s5, v8
	v_lshrrev_b32_e32 v10, 16, v11
	v_cmp_ne_u32_e32 vcc, 0, v8
	v_and_or_b32 v4, v10, s6, v4
	v_cndmask_b32_e64 v8, 0, 1, vcc
	v_lshrrev_b32_e32 v10, 8, v9
	v_bfe_u32 v11, v9, 20, 11
	v_and_or_b32 v8, v10, s4, v8
	v_sub_u32_e32 v17, 0x3f1, v11
	v_or_b32_e32 v10, 0x1000, v8
	v_med3_i32 v17, v17, 0, 13
	v_lshrrev_b32_e32 v22, v17, v10
	v_lshlrev_b32_e32 v17, v17, v22
	v_cmp_ne_u32_e32 vcc, v17, v10
	v_cndmask_b32_e64 v10, 0, 1, vcc
	v_add_u32_e32 v11, 0xfffffc10, v11
	v_or_b32_e32 v10, v22, v10
	v_lshl_or_b32 v17, v11, 12, v8
	v_cmp_gt_i32_e32 vcc, 1, v11
	v_cndmask_b32_e32 v10, v17, v10, vcc
	v_and_b32_e32 v17, 7, v10
	v_lshrrev_b32_e32 v16, 16, v27
	v_cmp_lt_i32_e32 vcc, 5, v17
	v_cmp_eq_u32_e64 s[0:1], 3, v17
	v_lshrrev_b32_e32 v10, 2, v10
	s_or_b64 vcc, s[0:1], vcc
	v_mul_f16_e32 v17, v21, v16
	v_addc_co_u32_e32 v10, vcc, 0, v10, vcc
	v_fma_f16 v17, v5, v27, v17
	v_cmp_gt_i32_e32 vcc, 31, v11
	v_cvt_f32_f16_e32 v17, v17
	v_cndmask_b32_e32 v10, v3, v10, vcc
	v_cmp_ne_u32_e32 vcc, 0, v8
	v_cndmask_b32_e64 v8, 0, 1, vcc
	v_lshl_or_b32 v8, v8, 9, v3
	v_cmp_eq_u32_e32 vcc, s7, v11
	v_cndmask_b32_e32 v10, v10, v8, vcc
	v_lshrrev_b32_e32 v11, 16, v9
	v_cvt_f64_f32_e32 v[8:9], v17
	v_and_or_b32 v10, v11, s6, v10
	v_and_b32_e32 v4, 0xffff, v4
	s_lshl_b64 s[0:1], s[8:9], 4
	v_mul_f64 v[8:9], v[8:9], s[2:3]
	v_lshl_or_b32 v4, v10, 16, v4
	v_mov_b32_e32 v11, s1
	v_add_co_u32_e32 v10, vcc, s0, v12
	v_addc_co_u32_e32 v11, vcc, v13, v11, vcc
	global_store_dword v[10:11], v4, off
	v_and_or_b32 v4, v9, s5, v8
	v_cmp_ne_u32_e32 vcc, 0, v4
	v_cndmask_b32_e64 v4, 0, 1, vcc
	v_lshrrev_b32_e32 v8, 8, v9
	v_bfe_u32 v10, v9, 20, 11
	v_and_or_b32 v8, v8, s4, v4
	v_sub_u32_e32 v11, 0x3f1, v10
	v_or_b32_e32 v4, 0x1000, v8
	v_med3_i32 v11, v11, 0, 13
	v_lshrrev_b32_e32 v17, v11, v4
	v_lshlrev_b32_e32 v11, v11, v17
	v_cmp_ne_u32_e32 vcc, v11, v4
	v_cndmask_b32_e64 v4, 0, 1, vcc
	v_or_b32_e32 v4, v17, v4
	v_mul_f16_e32 v17, v21, v27
	v_fma_f16 v5, v5, v16, -v17
	v_add_u32_e32 v10, 0xfffffc10, v10
	v_cvt_f32_f16_e32 v5, v5
	v_lshl_or_b32 v11, v10, 12, v8
	v_cmp_gt_i32_e32 vcc, 1, v10
	v_cndmask_b32_e32 v4, v11, v4, vcc
	v_and_b32_e32 v11, 7, v4
	v_cmp_lt_i32_e32 vcc, 5, v11
	v_cmp_eq_u32_e64 s[0:1], 3, v11
	v_lshrrev_b32_e32 v11, 2, v4
	v_cvt_f64_f32_e32 v[4:5], v5
	s_or_b64 vcc, s[0:1], vcc
	v_addc_co_u32_e32 v11, vcc, 0, v11, vcc
	v_mul_f64 v[4:5], v[4:5], s[2:3]
	v_cmp_gt_i32_e32 vcc, 31, v10
	v_cndmask_b32_e32 v11, v3, v11, vcc
	v_cmp_ne_u32_e32 vcc, 0, v8
	v_cndmask_b32_e64 v8, 0, 1, vcc
	v_lshl_or_b32 v8, v8, 9, v3
	v_cmp_eq_u32_e32 vcc, s7, v10
	v_cndmask_b32_e32 v8, v11, v8, vcc
	v_and_or_b32 v4, v5, s5, v4
	v_lshrrev_b32_e32 v9, 16, v9
	v_cmp_ne_u32_e32 vcc, 0, v4
	v_and_or_b32 v16, v9, s6, v8
	v_cndmask_b32_e64 v4, 0, 1, vcc
	v_lshrrev_b32_e32 v8, 8, v5
	v_bfe_u32 v9, v5, 20, 11
	v_and_or_b32 v4, v8, s4, v4
	v_sub_u32_e32 v10, 0x3f1, v9
	v_or_b32_e32 v8, 0x1000, v4
	v_med3_i32 v10, v10, 0, 13
	v_lshrrev_b32_e32 v11, v10, v8
	v_lshlrev_b32_e32 v10, v10, v11
	v_cmp_ne_u32_e32 vcc, v10, v8
	v_cndmask_b32_e64 v8, 0, 1, vcc
	v_add_u32_e32 v17, 0xfffffc10, v9
	v_or_b32_e32 v8, v11, v8
	v_lshl_or_b32 v9, v17, 12, v4
	v_cmp_gt_i32_e32 vcc, 1, v17
	v_cndmask_b32_e32 v8, v9, v8, vcc
	v_and_b32_e32 v9, 7, v8
	v_cmp_lt_i32_e32 vcc, 5, v9
	v_cmp_eq_u32_e64 s[0:1], 3, v9
	v_lshrrev_b32_e32 v8, 2, v8
	s_or_b64 vcc, s[0:1], vcc
	v_addc_co_u32_e32 v8, vcc, 0, v8, vcc
	v_cmp_gt_i32_e32 vcc, 31, v17
	v_lshrrev_b32_e32 v22, 16, v14
	v_cndmask_b32_e32 v21, v3, v8, vcc
	v_mul_f16_sdwa v8, v6, v22 dst_sel:DWORD dst_unused:UNUSED_PAD src0_sel:WORD_1 src1_sel:DWORD
	v_fma_f16 v8, v6, v14, v8
	v_cvt_f32_f16_e32 v10, v8
	v_mad_u64_u32 v[8:9], s[0:1], s8, 20, v[12:13]
	v_cmp_ne_u32_e32 vcc, 0, v4
	v_cvt_f64_f32_e32 v[10:11], v10
	v_cndmask_b32_e64 v4, 0, 1, vcc
	v_lshl_or_b32 v4, v4, 9, v3
	v_cmp_eq_u32_e32 vcc, s7, v17
	v_mul_f64 v[10:11], v[10:11], s[2:3]
	v_cndmask_b32_e32 v17, v21, v4, vcc
	v_mov_b32_e32 v4, v9
	v_lshrrev_b32_e32 v21, 16, v5
	v_mad_u64_u32 v[4:5], s[0:1], s9, 20, v[4:5]
	v_and_or_b32 v5, v21, s6, v17
	v_and_b32_e32 v9, 0xffff, v16
	v_lshl_or_b32 v5, v5, 16, v9
	v_mov_b32_e32 v9, v4
	v_and_or_b32 v4, v11, s5, v10
	v_cmp_ne_u32_e32 vcc, 0, v4
	global_store_dword v[8:9], v5, off
	v_cndmask_b32_e64 v4, 0, 1, vcc
	v_lshrrev_b32_e32 v5, 8, v11
	v_and_or_b32 v8, v5, s4, v4
	v_bfe_u32 v5, v11, 20, 11
	v_sub_u32_e32 v9, 0x3f1, v5
	v_or_b32_e32 v4, 0x1000, v8
	v_med3_i32 v9, v9, 0, 13
	v_lshrrev_b32_e32 v10, v9, v4
	v_lshlrev_b32_e32 v9, v9, v10
	v_cmp_ne_u32_e32 vcc, v9, v4
	v_cndmask_b32_e64 v4, 0, 1, vcc
	v_or_b32_e32 v4, v10, v4
	v_mul_f16_sdwa v10, v6, v14 dst_sel:DWORD dst_unused:UNUSED_PAD src0_sel:WORD_1 src1_sel:DWORD
	v_fma_f16 v6, v6, v22, -v10
	v_add_u32_e32 v9, 0xfffffc10, v5
	v_cvt_f32_f16_e32 v6, v6
	v_lshl_or_b32 v5, v9, 12, v8
	v_cmp_gt_i32_e32 vcc, 1, v9
	v_cndmask_b32_e32 v4, v5, v4, vcc
	v_and_b32_e32 v5, 7, v4
	v_cmp_lt_i32_e32 vcc, 5, v5
	v_cmp_eq_u32_e64 s[0:1], 3, v5
	v_lshrrev_b32_e32 v10, 2, v4
	v_cvt_f64_f32_e32 v[4:5], v6
	s_or_b64 vcc, s[0:1], vcc
	v_addc_co_u32_e32 v6, vcc, 0, v10, vcc
	v_mul_f64 v[4:5], v[4:5], s[2:3]
	v_cmp_gt_i32_e32 vcc, 31, v9
	v_cndmask_b32_e32 v6, v3, v6, vcc
	v_cmp_ne_u32_e32 vcc, 0, v8
	v_cndmask_b32_e64 v8, 0, 1, vcc
	v_lshl_or_b32 v8, v8, 9, v3
	v_cmp_eq_u32_e32 vcc, s7, v9
	v_cndmask_b32_e32 v6, v6, v8, vcc
	v_and_or_b32 v4, v5, s5, v4
	v_lshrrev_b32_e32 v8, 16, v11
	v_cmp_ne_u32_e32 vcc, 0, v4
	v_and_or_b32 v14, v8, s6, v6
	v_cndmask_b32_e64 v4, 0, 1, vcc
	v_lshrrev_b32_e32 v6, 8, v5
	v_bfe_u32 v8, v5, 20, 11
	v_and_or_b32 v4, v6, s4, v4
	v_sub_u32_e32 v9, 0x3f1, v8
	v_or_b32_e32 v6, 0x1000, v4
	v_med3_i32 v9, v9, 0, 13
	v_lshrrev_b32_e32 v10, v9, v6
	v_lshlrev_b32_e32 v9, v9, v10
	v_cmp_ne_u32_e32 vcc, v9, v6
	v_cndmask_b32_e64 v6, 0, 1, vcc
	v_add_u32_e32 v17, 0xfffffc10, v8
	v_or_b32_e32 v6, v10, v6
	v_lshl_or_b32 v8, v17, 12, v4
	v_cmp_gt_i32_e32 vcc, 1, v17
	v_cndmask_b32_e32 v6, v8, v6, vcc
	v_lshrrev_b32_e32 v16, 16, v15
	v_and_b32_e32 v8, 7, v6
	v_cmp_lt_i32_e32 vcc, 5, v8
	v_cmp_eq_u32_e64 s[0:1], 3, v8
	v_mul_f16_e32 v8, v20, v16
	v_fma_f16 v8, v7, v15, v8
	v_cvt_f32_f16_e32 v10, v8
	v_lshrrev_b32_e32 v6, 2, v6
	s_or_b64 vcc, s[0:1], vcc
	v_addc_co_u32_e32 v6, vcc, 0, v6, vcc
	v_cmp_gt_i32_e32 vcc, 31, v17
	v_cvt_f64_f32_e32 v[10:11], v10
	v_cndmask_b32_e32 v6, v3, v6, vcc
	v_cmp_ne_u32_e32 vcc, 0, v4
	v_cndmask_b32_e64 v4, 0, 1, vcc
	v_lshl_or_b32 v4, v4, 9, v3
	v_cmp_eq_u32_e32 vcc, s7, v17
	v_cndmask_b32_e32 v17, v6, v4, vcc
	v_lshrrev_b32_e32 v21, 16, v5
	v_mul_f64 v[5:6], v[10:11], s[2:3]
	v_mad_u64_u32 v[8:9], s[0:1], s8, 24, v[12:13]
	v_mov_b32_e32 v4, v9
	v_mad_u64_u32 v[9:10], s[0:1], s9, 24, v[4:5]
	v_and_or_b32 v4, v21, s6, v17
	v_and_b32_e32 v10, 0xffff, v14
	v_lshl_or_b32 v4, v4, 16, v10
	global_store_dword v[8:9], v4, off
	v_and_or_b32 v4, v6, s5, v5
	v_cmp_ne_u32_e32 vcc, 0, v4
	v_cndmask_b32_e64 v4, 0, 1, vcc
	v_lshrrev_b32_e32 v5, 8, v6
	v_and_or_b32 v8, v5, s4, v4
	v_bfe_u32 v5, v6, 20, 11
	v_sub_u32_e32 v9, 0x3f1, v5
	v_or_b32_e32 v4, 0x1000, v8
	v_med3_i32 v9, v9, 0, 13
	v_lshrrev_b32_e32 v10, v9, v4
	v_lshlrev_b32_e32 v9, v9, v10
	v_cmp_ne_u32_e32 vcc, v9, v4
	v_cndmask_b32_e64 v4, 0, 1, vcc
	v_or_b32_e32 v4, v10, v4
	v_mul_f16_e32 v10, v20, v15
	v_fma_f16 v7, v7, v16, -v10
	v_add_u32_e32 v9, 0xfffffc10, v5
	v_cvt_f32_f16_e32 v7, v7
	v_lshl_or_b32 v5, v9, 12, v8
	v_cmp_gt_i32_e32 vcc, 1, v9
	v_cndmask_b32_e32 v4, v5, v4, vcc
	v_and_b32_e32 v5, 7, v4
	v_cmp_lt_i32_e32 vcc, 5, v5
	v_cmp_eq_u32_e64 s[0:1], 3, v5
	v_lshrrev_b32_e32 v10, 2, v4
	v_cvt_f64_f32_e32 v[4:5], v7
	s_or_b64 vcc, s[0:1], vcc
	v_addc_co_u32_e32 v7, vcc, 0, v10, vcc
	v_mul_f64 v[4:5], v[4:5], s[2:3]
	v_cmp_gt_i32_e32 vcc, 31, v9
	v_cndmask_b32_e32 v7, v3, v7, vcc
	v_cmp_ne_u32_e32 vcc, 0, v8
	v_cndmask_b32_e64 v8, 0, 1, vcc
	v_lshl_or_b32 v8, v8, 9, v3
	v_cmp_eq_u32_e32 vcc, s7, v9
	v_cndmask_b32_e32 v7, v7, v8, vcc
	v_and_or_b32 v4, v5, s5, v4
	v_lshrrev_b32_e32 v6, 16, v6
	v_cmp_ne_u32_e32 vcc, 0, v4
	v_and_or_b32 v14, v6, s6, v7
	v_cndmask_b32_e64 v4, 0, 1, vcc
	v_lshrrev_b32_e32 v6, 8, v5
	v_bfe_u32 v7, v5, 20, 11
	v_and_or_b32 v4, v6, s4, v4
	v_sub_u32_e32 v8, 0x3f1, v7
	v_or_b32_e32 v6, 0x1000, v4
	v_med3_i32 v8, v8, 0, 13
	v_lshrrev_b32_e32 v9, v8, v6
	v_lshlrev_b32_e32 v8, v8, v9
	v_cmp_ne_u32_e32 vcc, v8, v6
	v_cndmask_b32_e64 v6, 0, 1, vcc
	v_add_u32_e32 v15, 0xfffffc10, v7
	v_or_b32_e32 v6, v9, v6
	v_lshl_or_b32 v7, v15, 12, v4
	v_cmp_gt_i32_e32 vcc, 1, v15
	v_cndmask_b32_e32 v6, v7, v6, vcc
	v_and_b32_e32 v7, 7, v6
	v_cmp_lt_i32_e32 vcc, 5, v7
	v_cmp_eq_u32_e64 s[0:1], 3, v7
	v_lshrrev_b32_e32 v6, 2, v6
	s_or_b64 vcc, s[0:1], vcc
	v_addc_co_u32_e32 v8, vcc, 0, v6, vcc
	ds_read2_b32 v[6:7], v18 offset0:8 offset1:9
	ds_read_b32 v17, v18 offset:40
	v_cmp_gt_i32_e32 vcc, 31, v15
	v_cndmask_b32_e32 v16, v3, v8, vcc
	v_cmp_ne_u32_e32 vcc, 0, v4
	s_waitcnt lgkmcnt(1)
	v_lshrrev_b32_e32 v18, 16, v6
	v_mul_f16_sdwa v8, v0, v18 dst_sel:DWORD dst_unused:UNUSED_PAD src0_sel:WORD_1 src1_sel:DWORD
	v_fma_f16 v8, v0, v6, v8
	v_cvt_f32_f16_e32 v10, v8
	v_mad_u64_u32 v[8:9], s[0:1], s8, 28, v[12:13]
	v_cndmask_b32_e64 v4, 0, 1, vcc
	v_cvt_f64_f32_e32 v[10:11], v10
	v_lshl_or_b32 v4, v4, 9, v3
	v_cmp_eq_u32_e32 vcc, s7, v15
	v_cndmask_b32_e32 v15, v16, v4, vcc
	v_mul_f64 v[10:11], v[10:11], s[2:3]
	v_mov_b32_e32 v4, v9
	v_lshrrev_b32_e32 v16, 16, v5
	v_mad_u64_u32 v[4:5], s[0:1], s9, 28, v[4:5]
	v_and_or_b32 v5, v16, s6, v15
	v_and_b32_e32 v9, 0xffff, v14
	v_lshl_or_b32 v5, v5, 16, v9
	v_mov_b32_e32 v9, v4
	v_and_or_b32 v4, v11, s5, v10
	v_cmp_ne_u32_e32 vcc, 0, v4
	global_store_dword v[8:9], v5, off
	v_cndmask_b32_e64 v4, 0, 1, vcc
	v_lshrrev_b32_e32 v5, 8, v11
	v_and_or_b32 v8, v5, s4, v4
	v_bfe_u32 v5, v11, 20, 11
	v_sub_u32_e32 v9, 0x3f1, v5
	v_or_b32_e32 v4, 0x1000, v8
	v_med3_i32 v9, v9, 0, 13
	v_lshrrev_b32_e32 v10, v9, v4
	v_lshlrev_b32_e32 v9, v9, v10
	v_mul_f16_sdwa v6, v0, v6 dst_sel:DWORD dst_unused:UNUSED_PAD src0_sel:WORD_1 src1_sel:DWORD
	v_cmp_ne_u32_e32 vcc, v9, v4
	v_fma_f16 v0, v0, v18, -v6
	v_cndmask_b32_e64 v4, 0, 1, vcc
	v_add_u32_e32 v9, 0xfffffc10, v5
	v_cvt_f32_f16_e32 v0, v0
	v_or_b32_e32 v4, v10, v4
	v_lshl_or_b32 v5, v9, 12, v8
	v_cmp_gt_i32_e32 vcc, 1, v9
	v_cndmask_b32_e32 v4, v5, v4, vcc
	v_and_b32_e32 v5, 7, v4
	v_cmp_lt_i32_e32 vcc, 5, v5
	v_cmp_eq_u32_e64 s[0:1], 3, v5
	v_lshrrev_b32_e32 v6, 2, v4
	v_cvt_f64_f32_e32 v[4:5], v0
	s_or_b64 vcc, s[0:1], vcc
	v_addc_co_u32_e32 v0, vcc, 0, v6, vcc
	v_mul_f64 v[4:5], v[4:5], s[2:3]
	v_cmp_gt_i32_e32 vcc, 31, v9
	v_cndmask_b32_e32 v0, v3, v0, vcc
	v_cmp_ne_u32_e32 vcc, 0, v8
	v_cndmask_b32_e64 v6, 0, 1, vcc
	v_lshl_or_b32 v6, v6, 9, v3
	v_cmp_eq_u32_e32 vcc, s7, v9
	v_cndmask_b32_e32 v0, v0, v6, vcc
	v_and_or_b32 v4, v5, s5, v4
	v_lshrrev_b32_e32 v6, 16, v11
	v_cmp_ne_u32_e32 vcc, 0, v4
	v_and_or_b32 v0, v6, s6, v0
	v_cndmask_b32_e64 v4, 0, 1, vcc
	v_lshrrev_b32_e32 v6, 8, v5
	v_bfe_u32 v8, v5, 20, 11
	v_and_or_b32 v4, v6, s4, v4
	v_sub_u32_e32 v9, 0x3f1, v8
	v_or_b32_e32 v6, 0x1000, v4
	v_med3_i32 v9, v9, 0, 13
	v_lshrrev_b32_e32 v10, v9, v6
	v_lshlrev_b32_e32 v9, v9, v10
	v_cmp_ne_u32_e32 vcc, v9, v6
	v_cndmask_b32_e64 v6, 0, 1, vcc
	v_add_u32_e32 v8, 0xfffffc10, v8
	v_or_b32_e32 v6, v10, v6
	v_lshl_or_b32 v9, v8, 12, v4
	v_cmp_gt_i32_e32 vcc, 1, v8
	v_cndmask_b32_e32 v6, v9, v6, vcc
	v_and_b32_e32 v9, 7, v6
	v_lshrrev_b32_e32 v14, 16, v7
	v_cmp_lt_i32_e32 vcc, 5, v9
	v_cmp_eq_u32_e64 s[0:1], 3, v9
	v_lshrrev_b32_e32 v6, 2, v6
	s_or_b64 vcc, s[0:1], vcc
	v_mul_f16_e32 v9, v19, v14
	v_addc_co_u32_e32 v6, vcc, 0, v6, vcc
	v_fma_f16 v9, v1, v7, v9
	v_cmp_gt_i32_e32 vcc, 31, v8
	v_cvt_f32_f16_e32 v9, v9
	v_cndmask_b32_e32 v6, v3, v6, vcc
	v_cmp_ne_u32_e32 vcc, 0, v4
	v_cndmask_b32_e64 v4, 0, 1, vcc
	v_lshl_or_b32 v4, v4, 9, v3
	v_cmp_eq_u32_e32 vcc, s7, v8
	v_cndmask_b32_e32 v6, v6, v4, vcc
	v_lshrrev_b32_e32 v8, 16, v5
	v_cvt_f64_f32_e32 v[4:5], v9
	v_and_or_b32 v6, v8, s6, v6
	v_and_b32_e32 v0, 0xffff, v0
	s_lshl_b64 s[0:1], s[8:9], 5
	v_mul_f64 v[4:5], v[4:5], s[2:3]
	v_lshl_or_b32 v0, v6, 16, v0
	v_mov_b32_e32 v6, s1
	v_add_co_u32_e32 v8, vcc, s0, v12
	v_addc_co_u32_e32 v9, vcc, v13, v6, vcc
	global_store_dword v[8:9], v0, off
	v_and_or_b32 v0, v5, s5, v4
	v_cmp_ne_u32_e32 vcc, 0, v0
	v_cndmask_b32_e64 v0, 0, 1, vcc
	v_lshrrev_b32_e32 v4, 8, v5
	v_bfe_u32 v6, v5, 20, 11
	v_and_or_b32 v4, v4, s4, v0
	v_sub_u32_e32 v8, 0x3f1, v6
	v_or_b32_e32 v0, 0x1000, v4
	v_med3_i32 v8, v8, 0, 13
	v_lshrrev_b32_e32 v9, v8, v0
	v_mul_f16_e32 v7, v19, v7
	v_lshlrev_b32_e32 v8, v8, v9
	v_fma_f16 v1, v1, v14, -v7
	v_cmp_ne_u32_e32 vcc, v8, v0
	v_cvt_f32_f16_e32 v1, v1
	v_cndmask_b32_e64 v0, 0, 1, vcc
	v_add_u32_e32 v6, 0xfffffc10, v6
	v_or_b32_e32 v0, v9, v0
	v_lshl_or_b32 v8, v6, 12, v4
	v_cmp_gt_i32_e32 vcc, 1, v6
	v_cndmask_b32_e32 v0, v8, v0, vcc
	v_and_b32_e32 v8, 7, v0
	v_lshrrev_b32_e32 v7, 2, v0
	v_cvt_f64_f32_e32 v[0:1], v1
	v_cmp_lt_i32_e32 vcc, 5, v8
	v_cmp_eq_u32_e64 s[0:1], 3, v8
	s_or_b64 vcc, s[0:1], vcc
	v_mul_f64 v[0:1], v[0:1], s[2:3]
	v_addc_co_u32_e32 v7, vcc, 0, v7, vcc
	v_cmp_gt_i32_e32 vcc, 31, v6
	v_cndmask_b32_e32 v7, v3, v7, vcc
	v_cmp_ne_u32_e32 vcc, 0, v4
	v_cndmask_b32_e64 v4, 0, 1, vcc
	v_lshl_or_b32 v4, v4, 9, v3
	v_cmp_eq_u32_e32 vcc, s7, v6
	v_and_or_b32 v0, v1, s5, v0
	v_cndmask_b32_e32 v4, v7, v4, vcc
	v_lshrrev_b32_e32 v5, 16, v5
	v_cmp_ne_u32_e32 vcc, 0, v0
	v_and_or_b32 v8, v5, s6, v4
	v_cndmask_b32_e64 v0, 0, 1, vcc
	v_lshrrev_b32_e32 v4, 8, v1
	v_bfe_u32 v5, v1, 20, 11
	v_and_or_b32 v0, v4, s4, v0
	v_sub_u32_e32 v6, 0x3f1, v5
	v_or_b32_e32 v4, 0x1000, v0
	v_med3_i32 v6, v6, 0, 13
	v_lshrrev_b32_e32 v7, v6, v4
	v_lshlrev_b32_e32 v6, v6, v7
	v_cmp_ne_u32_e32 vcc, v6, v4
	v_cndmask_b32_e64 v4, 0, 1, vcc
	v_add_u32_e32 v9, 0xfffffc10, v5
	v_or_b32_e32 v4, v7, v4
	v_lshl_or_b32 v5, v9, 12, v0
	v_cmp_gt_i32_e32 vcc, 1, v9
	v_cndmask_b32_e32 v4, v5, v4, vcc
	v_and_b32_e32 v5, 7, v4
	v_cmp_lt_i32_e32 vcc, 5, v5
	v_cmp_eq_u32_e64 s[0:1], 3, v5
	v_lshrrev_b32_e32 v4, 2, v4
	s_or_b64 vcc, s[0:1], vcc
	v_addc_co_u32_e32 v4, vcc, 0, v4, vcc
	v_cmp_gt_i32_e32 vcc, 31, v9
	s_waitcnt lgkmcnt(0)
	v_lshrrev_b32_e32 v11, 16, v17
	v_cndmask_b32_e32 v10, v3, v4, vcc
	v_mul_f16_sdwa v4, v2, v11 dst_sel:DWORD dst_unused:UNUSED_PAD src0_sel:WORD_1 src1_sel:DWORD
	v_fma_f16 v4, v2, v17, v4
	v_cvt_f32_f16_e32 v6, v4
	v_mad_u64_u32 v[4:5], s[0:1], s8, 36, v[12:13]
	v_cmp_ne_u32_e32 vcc, 0, v0
	v_cvt_f64_f32_e32 v[6:7], v6
	v_cndmask_b32_e64 v0, 0, 1, vcc
	v_lshl_or_b32 v0, v0, 9, v3
	v_cmp_eq_u32_e32 vcc, s7, v9
	v_mul_f64 v[6:7], v[6:7], s[2:3]
	v_cndmask_b32_e32 v9, v10, v0, vcc
	v_mov_b32_e32 v0, v5
	v_lshrrev_b32_e32 v10, 16, v1
	v_mad_u64_u32 v[0:1], s[0:1], s9, 36, v[0:1]
	v_and_or_b32 v1, v10, s6, v9
	v_and_b32_e32 v5, 0xffff, v8
	v_lshl_or_b32 v1, v1, 16, v5
	v_mov_b32_e32 v5, v0
	v_and_or_b32 v0, v7, s5, v6
	v_cmp_ne_u32_e32 vcc, 0, v0
	global_store_dword v[4:5], v1, off
	v_cndmask_b32_e64 v0, 0, 1, vcc
	v_lshrrev_b32_e32 v1, 8, v7
	v_and_or_b32 v4, v1, s4, v0
	v_bfe_u32 v1, v7, 20, 11
	v_sub_u32_e32 v5, 0x3f1, v1
	v_or_b32_e32 v0, 0x1000, v4
	v_med3_i32 v5, v5, 0, 13
	v_lshrrev_b32_e32 v6, v5, v0
	v_lshlrev_b32_e32 v5, v5, v6
	v_cmp_ne_u32_e32 vcc, v5, v0
	v_cndmask_b32_e64 v0, 0, 1, vcc
	v_or_b32_e32 v0, v6, v0
	v_mul_f16_sdwa v6, v2, v17 dst_sel:DWORD dst_unused:UNUSED_PAD src0_sel:WORD_1 src1_sel:DWORD
	v_fma_f16 v2, v2, v11, -v6
	v_add_u32_e32 v5, 0xfffffc10, v1
	v_cvt_f32_f16_e32 v2, v2
	v_lshl_or_b32 v1, v5, 12, v4
	v_cmp_gt_i32_e32 vcc, 1, v5
	v_cndmask_b32_e32 v0, v1, v0, vcc
	v_and_b32_e32 v1, 7, v0
	v_cmp_lt_i32_e32 vcc, 5, v1
	v_cmp_eq_u32_e64 s[0:1], 3, v1
	v_lshrrev_b32_e32 v6, 2, v0
	v_cvt_f64_f32_e32 v[0:1], v2
	s_or_b64 vcc, s[0:1], vcc
	v_addc_co_u32_e32 v2, vcc, 0, v6, vcc
	v_mul_f64 v[0:1], v[0:1], s[2:3]
	v_cmp_gt_i32_e32 vcc, 31, v5
	v_cndmask_b32_e32 v2, v3, v2, vcc
	v_cmp_ne_u32_e32 vcc, 0, v4
	v_cndmask_b32_e64 v4, 0, 1, vcc
	v_lshl_or_b32 v4, v4, 9, v3
	v_cmp_eq_u32_e32 vcc, s7, v5
	v_cndmask_b32_e32 v2, v2, v4, vcc
	v_and_or_b32 v0, v1, s5, v0
	v_lshrrev_b32_e32 v4, 16, v7
	v_cmp_ne_u32_e32 vcc, 0, v0
	v_and_or_b32 v4, v4, s6, v2
	v_cndmask_b32_e64 v0, 0, 1, vcc
	v_lshrrev_b32_e32 v2, 8, v1
	v_bfe_u32 v5, v1, 20, 11
	v_and_or_b32 v0, v2, s4, v0
	v_sub_u32_e32 v6, 0x3f1, v5
	v_or_b32_e32 v2, 0x1000, v0
	v_med3_i32 v6, v6, 0, 13
	v_lshrrev_b32_e32 v7, v6, v2
	v_lshlrev_b32_e32 v6, v6, v7
	v_cmp_ne_u32_e32 vcc, v6, v2
	v_cndmask_b32_e64 v2, 0, 1, vcc
	v_add_u32_e32 v5, 0xfffffc10, v5
	v_or_b32_e32 v2, v7, v2
	v_lshl_or_b32 v6, v5, 12, v0
	v_cmp_gt_i32_e32 vcc, 1, v5
	v_cndmask_b32_e32 v2, v6, v2, vcc
	v_and_b32_e32 v6, 7, v2
	v_cmp_lt_i32_e32 vcc, 5, v6
	v_cmp_eq_u32_e64 s[0:1], 3, v6
	v_lshrrev_b32_e32 v2, 2, v2
	s_or_b64 vcc, s[0:1], vcc
	v_addc_co_u32_e32 v2, vcc, 0, v2, vcc
	v_cmp_gt_i32_e32 vcc, 31, v5
	v_cndmask_b32_e32 v6, v3, v2, vcc
	v_cmp_ne_u32_e32 vcc, 0, v0
	v_cndmask_b32_e64 v0, 0, 1, vcc
	v_lshl_or_b32 v0, v0, 9, v3
	v_mad_u64_u32 v[2:3], s[0:1], s8, 40, v[12:13]
	v_cmp_eq_u32_e32 vcc, s7, v5
	v_cndmask_b32_e32 v5, v6, v0, vcc
	v_mov_b32_e32 v0, v3
	v_lshrrev_b32_e32 v6, 16, v1
	v_mad_u64_u32 v[0:1], s[0:1], s9, 40, v[0:1]
	v_and_or_b32 v1, v6, s6, v5
	v_and_b32_e32 v3, 0xffff, v4
	v_lshl_or_b32 v1, v1, 16, v3
	v_mov_b32_e32 v3, v0
	global_store_dword v[2:3], v1, off
.LBB0_2:
	s_endpgm
	.section	.rodata,"a",@progbits
	.p2align	6, 0x0
	.amdhsa_kernel bluestein_single_back_len11_dim1_half_op_CI_CI
		.amdhsa_group_segment_fixed_size 5632
		.amdhsa_private_segment_fixed_size 0
		.amdhsa_kernarg_size 104
		.amdhsa_user_sgpr_count 6
		.amdhsa_user_sgpr_private_segment_buffer 1
		.amdhsa_user_sgpr_dispatch_ptr 0
		.amdhsa_user_sgpr_queue_ptr 0
		.amdhsa_user_sgpr_kernarg_segment_ptr 1
		.amdhsa_user_sgpr_dispatch_id 0
		.amdhsa_user_sgpr_flat_scratch_init 0
		.amdhsa_user_sgpr_private_segment_size 0
		.amdhsa_uses_dynamic_stack 0
		.amdhsa_system_sgpr_private_segment_wavefront_offset 0
		.amdhsa_system_sgpr_workgroup_id_x 1
		.amdhsa_system_sgpr_workgroup_id_y 0
		.amdhsa_system_sgpr_workgroup_id_z 0
		.amdhsa_system_sgpr_workgroup_info 0
		.amdhsa_system_vgpr_workitem_id 0
		.amdhsa_next_free_vgpr 70
		.amdhsa_next_free_sgpr 21
		.amdhsa_reserve_vcc 1
		.amdhsa_reserve_flat_scratch 0
		.amdhsa_float_round_mode_32 0
		.amdhsa_float_round_mode_16_64 0
		.amdhsa_float_denorm_mode_32 3
		.amdhsa_float_denorm_mode_16_64 3
		.amdhsa_dx10_clamp 1
		.amdhsa_ieee_mode 1
		.amdhsa_fp16_overflow 0
		.amdhsa_exception_fp_ieee_invalid_op 0
		.amdhsa_exception_fp_denorm_src 0
		.amdhsa_exception_fp_ieee_div_zero 0
		.amdhsa_exception_fp_ieee_overflow 0
		.amdhsa_exception_fp_ieee_underflow 0
		.amdhsa_exception_fp_ieee_inexact 0
		.amdhsa_exception_int_div_zero 0
	.end_amdhsa_kernel
	.text
.Lfunc_end0:
	.size	bluestein_single_back_len11_dim1_half_op_CI_CI, .Lfunc_end0-bluestein_single_back_len11_dim1_half_op_CI_CI
                                        ; -- End function
	.section	.AMDGPU.csdata,"",@progbits
; Kernel info:
; codeLenInByte = 11544
; NumSgprs: 25
; NumVgprs: 70
; ScratchSize: 0
; MemoryBound: 0
; FloatMode: 240
; IeeeMode: 1
; LDSByteSize: 5632 bytes/workgroup (compile time only)
; SGPRBlocks: 3
; VGPRBlocks: 17
; NumSGPRsForWavesPerEU: 25
; NumVGPRsForWavesPerEU: 70
; Occupancy: 3
; WaveLimiterHint : 1
; COMPUTE_PGM_RSRC2:SCRATCH_EN: 0
; COMPUTE_PGM_RSRC2:USER_SGPR: 6
; COMPUTE_PGM_RSRC2:TRAP_HANDLER: 0
; COMPUTE_PGM_RSRC2:TGID_X_EN: 1
; COMPUTE_PGM_RSRC2:TGID_Y_EN: 0
; COMPUTE_PGM_RSRC2:TGID_Z_EN: 0
; COMPUTE_PGM_RSRC2:TIDIG_COMP_CNT: 0
	.type	__hip_cuid_4f9327d40f57b6ca,@object ; @__hip_cuid_4f9327d40f57b6ca
	.section	.bss,"aw",@nobits
	.globl	__hip_cuid_4f9327d40f57b6ca
__hip_cuid_4f9327d40f57b6ca:
	.byte	0                               ; 0x0
	.size	__hip_cuid_4f9327d40f57b6ca, 1

	.ident	"AMD clang version 19.0.0git (https://github.com/RadeonOpenCompute/llvm-project roc-6.4.0 25133 c7fe45cf4b819c5991fe208aaa96edf142730f1d)"
	.section	".note.GNU-stack","",@progbits
	.addrsig
	.addrsig_sym __hip_cuid_4f9327d40f57b6ca
	.amdgpu_metadata
---
amdhsa.kernels:
  - .args:
      - .actual_access:  read_only
        .address_space:  global
        .offset:         0
        .size:           8
        .value_kind:     global_buffer
      - .actual_access:  read_only
        .address_space:  global
        .offset:         8
        .size:           8
        .value_kind:     global_buffer
      - .actual_access:  read_only
        .address_space:  global
        .offset:         16
        .size:           8
        .value_kind:     global_buffer
      - .actual_access:  read_only
        .address_space:  global
        .offset:         24
        .size:           8
        .value_kind:     global_buffer
      - .actual_access:  read_only
        .address_space:  global
        .offset:         32
        .size:           8
        .value_kind:     global_buffer
      - .offset:         40
        .size:           8
        .value_kind:     by_value
      - .address_space:  global
        .offset:         48
        .size:           8
        .value_kind:     global_buffer
      - .address_space:  global
        .offset:         56
        .size:           8
        .value_kind:     global_buffer
      - .address_space:  global
        .offset:         64
        .size:           8
        .value_kind:     global_buffer
      - .address_space:  global
        .offset:         72
        .size:           8
        .value_kind:     global_buffer
      - .offset:         80
        .size:           4
        .value_kind:     by_value
      - .address_space:  global
        .offset:         88
        .size:           8
        .value_kind:     global_buffer
      - .address_space:  global
        .offset:         96
        .size:           8
        .value_kind:     global_buffer
    .group_segment_fixed_size: 5632
    .kernarg_segment_align: 8
    .kernarg_segment_size: 104
    .language:       OpenCL C
    .language_version:
      - 2
      - 0
    .max_flat_workgroup_size: 128
    .name:           bluestein_single_back_len11_dim1_half_op_CI_CI
    .private_segment_fixed_size: 0
    .sgpr_count:     25
    .sgpr_spill_count: 0
    .symbol:         bluestein_single_back_len11_dim1_half_op_CI_CI.kd
    .uniform_work_group_size: 1
    .uses_dynamic_stack: false
    .vgpr_count:     70
    .vgpr_spill_count: 0
    .wavefront_size: 64
amdhsa.target:   amdgcn-amd-amdhsa--gfx906
amdhsa.version:
  - 1
  - 2
...

	.end_amdgpu_metadata
